;; amdgpu-corpus repo=ROCm/rocFFT kind=compiled arch=gfx1030 opt=O3
	.text
	.amdgcn_target "amdgcn-amd-amdhsa--gfx1030"
	.amdhsa_code_object_version 6
	.protected	bluestein_single_back_len561_dim1_sp_op_CI_CI ; -- Begin function bluestein_single_back_len561_dim1_sp_op_CI_CI
	.globl	bluestein_single_back_len561_dim1_sp_op_CI_CI
	.p2align	8
	.type	bluestein_single_back_len561_dim1_sp_op_CI_CI,@function
bluestein_single_back_len561_dim1_sp_op_CI_CI: ; @bluestein_single_back_len561_dim1_sp_op_CI_CI
; %bb.0:
	s_mov_b64 s[18:19], s[2:3]
	s_mov_b64 s[16:17], s[0:1]
	s_load_dwordx4 s[0:3], s[4:5], 0x28
	v_mul_u32_u24_e32 v1, 0x506, v0
	s_add_u32 s16, s16, s7
	s_addc_u32 s17, s17, 0
	v_lshrrev_b32_e32 v1, 16, v1
	v_mad_u64_u32 v[68:69], null, s6, 5, v[1:2]
	v_mov_b32_e32 v69, 0
                                        ; kill: def $vgpr2 killed $sgpr0 killed $exec
	s_waitcnt lgkmcnt(0)
	v_cmp_gt_u64_e32 vcc_lo, s[0:1], v[68:69]
	s_and_saveexec_b32 s0, vcc_lo
	s_cbranch_execz .LBB0_23
; %bb.1:
	v_mul_hi_u32 v2, 0xcccccccd, v68
	s_clause 0x1
	s_load_dwordx2 s[12:13], s[4:5], 0x0
	s_load_dwordx2 s[14:15], s[4:5], 0x38
	v_mul_lo_u16 v1, v1, 51
	v_sub_nc_u16 v0, v0, v1
	v_lshrrev_b32_e32 v2, 2, v2
	v_and_b32_e32 v90, 0xffff, v0
	v_lshl_add_u32 v2, v2, 2, v2
	v_cmp_gt_u16_e32 vcc_lo, 33, v0
	v_lshlrev_b32_e32 v89, 3, v90
	v_sub_nc_u32_e32 v1, v68, v2
	v_mul_u32_u24_e32 v44, 0x231, v1
	v_lshlrev_b32_e32 v91, 3, v44
	s_and_saveexec_b32 s1, vcc_lo
	s_cbranch_execz .LBB0_3
; %bb.2:
	s_load_dwordx2 s[6:7], s[4:5], 0x18
	s_waitcnt lgkmcnt(0)
	v_add_co_u32 v24, s0, s12, v89
	v_add_co_ci_u32_e64 v25, null, s13, 0, s0
	v_add_nc_u32_e32 v67, v91, v89
	v_add_co_u32 v22, s0, 0x800, v24
	v_add_co_ci_u32_e64 v23, s0, 0, v25, s0
	v_lshl_add_u32 v73, v90, 3, v91
	v_add_nc_u32_e32 v74, 0x400, v67
	v_add_nc_u32_e32 v75, 0x800, v67
	s_load_dwordx4 s[8:11], s[6:7], 0x0
	s_clause 0x2
	global_load_dwordx2 v[4:5], v89, s[12:13]
	global_load_dwordx2 v[6:7], v89, s[12:13] offset:264
	global_load_dwordx2 v[8:9], v89, s[12:13] offset:528
	s_waitcnt lgkmcnt(0)
	v_mad_u64_u32 v[0:1], null, s10, v68, 0
	v_mad_u64_u32 v[2:3], null, s8, v90, 0
	s_mul_i32 s6, s9, 0x108
	s_mul_hi_u32 s7, s8, 0x108
	s_add_i32 s7, s7, s6
	v_mad_u64_u32 v[10:11], null, s11, v68, v[1:2]
	v_mov_b32_e32 v1, v10
	v_add_co_u32 v10, s0, 0x1000, v24
	v_lshlrev_b64 v[0:1], 3, v[0:1]
	s_waitcnt vmcnt(2)
	v_mad_u64_u32 v[11:12], null, s9, v90, v[3:4]
	s_clause 0x4
	global_load_dwordx2 v[12:13], v89, s[12:13] offset:792
	global_load_dwordx2 v[14:15], v89, s[12:13] offset:1056
	;; [unrolled: 1-line block ×5, first 2 shown]
	v_mov_b32_e32 v3, v11
	v_add_co_ci_u32_e64 v11, s0, 0, v25, s0
	v_add_co_u32 v0, s0, s2, v0
	v_lshlrev_b64 v[2:3], 3, v[2:3]
	v_add_co_ci_u32_e64 v1, s0, s3, v1, s0
	s_mul_i32 s2, s8, 0x108
	s_clause 0x6
	global_load_dwordx2 v[24:25], v[22:23], off offset:64
	global_load_dwordx2 v[26:27], v[22:23], off offset:328
	;; [unrolled: 1-line block ×7, first 2 shown]
	v_add_co_u32 v0, s0, v0, v2
	v_add_co_ci_u32_e64 v1, s0, v1, v3, s0
	v_add_co_u32 v2, s0, v0, s2
	v_add_co_ci_u32_e64 v3, s0, s7, v1, s0
	global_load_dwordx2 v[0:1], v[0:1], off
	v_add_co_u32 v32, s0, v2, s2
	v_add_co_ci_u32_e64 v33, s0, s7, v3, s0
	v_add_co_u32 v40, s0, v32, s2
	v_add_co_ci_u32_e64 v41, s0, s7, v33, s0
	;; [unrolled: 2-line block ×3, first 2 shown]
	s_clause 0x2
	global_load_dwordx2 v[2:3], v[2:3], off
	global_load_dwordx2 v[32:33], v[32:33], off
	;; [unrolled: 1-line block ×3, first 2 shown]
	v_add_co_u32 v45, s0, v42, s2
	v_add_co_ci_u32_e64 v46, s0, s7, v43, s0
	global_load_dwordx2 v[42:43], v[42:43], off
	v_add_co_u32 v47, s0, v45, s2
	v_add_co_ci_u32_e64 v48, s0, s7, v46, s0
	global_load_dwordx2 v[45:46], v[45:46], off
	;; [unrolled: 3-line block ×11, first 2 shown]
	v_add_co_u32 v69, s0, v65, s2
	v_add_co_ci_u32_e64 v70, s0, s7, v66, s0
	global_load_dwordx2 v[22:23], v[22:23], off offset:1912
	global_load_dwordx2 v[65:66], v[65:66], off
	global_load_dwordx2 v[10:11], v[10:11], off offset:128
	global_load_dwordx2 v[69:70], v[69:70], off
	s_waitcnt vmcnt(18)
	v_mul_f32_e32 v71, v1, v5
	v_mul_f32_e32 v5, v0, v5
	v_fmac_f32_e32 v71, v0, v4
	v_fma_f32 v72, v1, v4, -v5
	ds_write_b64 v73, v[71:72]
	s_waitcnt vmcnt(17)
	v_mul_f32_e32 v0, v3, v7
	v_mul_f32_e32 v1, v2, v7
	s_waitcnt vmcnt(15)
	v_mul_f32_e32 v4, v41, v13
	v_mul_f32_e32 v5, v40, v13
	v_fmac_f32_e32 v0, v2, v6
	v_mul_f32_e32 v2, v33, v9
	v_fma_f32 v1, v3, v6, -v1
	v_mul_f32_e32 v3, v32, v9
	s_waitcnt vmcnt(14)
	v_mul_f32_e32 v6, v43, v15
	v_mul_f32_e32 v7, v42, v15
	v_fmac_f32_e32 v2, v32, v8
	v_fmac_f32_e32 v4, v40, v12
	v_fma_f32 v3, v33, v8, -v3
	v_fma_f32 v5, v41, v12, -v5
	s_waitcnt vmcnt(13)
	v_mul_f32_e32 v8, v46, v17
	v_mul_f32_e32 v9, v45, v17
	s_waitcnt vmcnt(12)
	v_mul_f32_e32 v12, v48, v19
	v_mul_f32_e32 v13, v47, v19
	v_fmac_f32_e32 v6, v42, v14
	v_fma_f32 v7, v43, v14, -v7
	v_fmac_f32_e32 v8, v45, v16
	v_fma_f32 v9, v46, v16, -v9
	;; [unrolled: 2-line block ×3, first 2 shown]
	ds_write2_b64 v67, v[0:1], v[2:3] offset0:33 offset1:66
	ds_write2_b64 v67, v[4:5], v[6:7] offset0:99 offset1:132
	s_waitcnt vmcnt(11)
	v_mul_f32_e32 v0, v50, v21
	v_mul_f32_e32 v1, v49, v21
	s_waitcnt vmcnt(10)
	v_mul_f32_e32 v2, v52, v25
	v_mul_f32_e32 v3, v51, v25
	ds_write2_b64 v67, v[8:9], v[12:13] offset0:165 offset1:198
	v_fmac_f32_e32 v0, v49, v20
	s_waitcnt vmcnt(9)
	v_mul_f32_e32 v4, v54, v27
	v_mul_f32_e32 v5, v53, v27
	v_fma_f32 v1, v50, v20, -v1
	v_fmac_f32_e32 v2, v51, v24
	v_fma_f32 v3, v52, v24, -v3
	s_waitcnt vmcnt(8)
	v_mul_f32_e32 v6, v56, v29
	v_mul_f32_e32 v7, v55, v29
	v_fmac_f32_e32 v4, v53, v26
	v_fma_f32 v5, v54, v26, -v5
	s_waitcnt vmcnt(7)
	v_mul_f32_e32 v8, v58, v31
	v_mul_f32_e32 v9, v57, v31
	;; [unrolled: 5-line block ×5, first 2 shown]
	v_fmac_f32_e32 v14, v61, v36
	s_waitcnt vmcnt(2)
	v_mul_f32_e32 v18, v66, v23
	v_mul_f32_e32 v19, v65, v23
	s_waitcnt vmcnt(0)
	v_mul_f32_e32 v20, v70, v11
	v_mul_f32_e32 v11, v69, v11
	v_fma_f32 v15, v62, v36, -v15
	v_fmac_f32_e32 v16, v63, v38
	v_fma_f32 v17, v64, v38, -v17
	v_fmac_f32_e32 v18, v65, v22
	;; [unrolled: 2-line block ×3, first 2 shown]
	v_fma_f32 v21, v70, v10, -v11
	v_add_nc_u32_e32 v10, 0xc00, v67
	ds_write2_b64 v74, v[0:1], v[2:3] offset0:103 offset1:136
	ds_write2_b64 v75, v[4:5], v[6:7] offset0:41 offset1:74
	ds_write2_b64 v75, v[8:9], v[12:13] offset0:107 offset1:140
	ds_write2_b64 v75, v[14:15], v[16:17] offset0:173 offset1:206
	ds_write2_b64 v10, v[18:19], v[20:21] offset0:111 offset1:144
.LBB0_3:
	s_or_b32 exec_lo, exec_lo, s1
	v_mov_b32_e32 v20, 0
	v_mov_b32_e32 v21, 0
	s_waitcnt lgkmcnt(0)
	s_barrier
	buffer_gl0_inv
                                        ; implicit-def: $vgpr10
                                        ; implicit-def: $vgpr4
                                        ; implicit-def: $vgpr12
                                        ; implicit-def: $vgpr16
                                        ; implicit-def: $vgpr36
                                        ; implicit-def: $vgpr26
                                        ; implicit-def: $vgpr30
                                        ; implicit-def: $vgpr34
	s_and_saveexec_b32 s0, vcc_lo
	s_cbranch_execz .LBB0_5
; %bb.4:
	v_lshl_add_u32 v0, v44, 3, v89
	v_add_nc_u32_e32 v1, 0x800, v0
	ds_read2_b64 v[20:23], v0 offset1:33
	ds_read2_b64 v[32:35], v0 offset0:66 offset1:99
	ds_read2_b64 v[28:31], v0 offset0:132 offset1:165
	;; [unrolled: 1-line block ×7, first 2 shown]
	ds_read_b64 v[36:37], v0 offset:4224
.LBB0_5:
	s_or_b32 exec_lo, exec_lo, s0
	s_waitcnt lgkmcnt(0)
	v_sub_f32_e32 v38, v23, v37
	v_sub_f32_e32 v39, v22, v36
	v_add_f32_e32 v84, v36, v22
	v_sub_f32_e32 v41, v33, v19
	v_add_f32_e32 v85, v37, v23
	v_mul_f32_e32 v45, 0xbeb8f4ab, v38
	v_mul_f32_e32 v46, 0xbeb8f4ab, v39
	v_add_f32_e32 v87, v18, v32
	v_sub_f32_e32 v40, v32, v18
	v_mul_f32_e32 v47, 0xbf2c7751, v41
	v_fmamk_f32 v0, v84, 0x3f6eb680, v45
	v_sub_f32_e32 v43, v35, v17
	v_fma_f32 v1, 0x3f6eb680, v85, -v46
	v_add_f32_e32 v97, v19, v33
	v_mul_f32_e32 v48, 0xbf2c7751, v40
	v_add_f32_e32 v0, v0, v20
	v_fmamk_f32 v2, v87, 0x3f3d2fb0, v47
	v_sub_f32_e32 v42, v34, v16
	v_add_f32_e32 v109, v16, v34
	v_mul_f32_e32 v49, 0xbf65296c, v43
	v_sub_f32_e32 v136, v29, v15
	v_add_f32_e32 v1, v1, v21
	v_fma_f32 v3, 0x3f3d2fb0, v97, -v48
	v_add_f32_e32 v0, v2, v0
	v_add_f32_e32 v110, v17, v35
	v_mul_f32_e32 v50, 0xbf65296c, v42
	v_fmamk_f32 v2, v109, 0x3ee437d1, v49
	v_sub_f32_e32 v92, v28, v14
	v_add_f32_e32 v95, v14, v28
	v_mul_f32_e32 v51, 0xbf7ee86f, v136
	v_sub_f32_e32 v140, v31, v13
	v_add_f32_e32 v1, v3, v1
	v_fma_f32 v3, 0x3ee437d1, v110, -v50
	v_add_f32_e32 v98, v15, v29
	v_mul_f32_e32 v52, 0xbf7ee86f, v92
	v_add_f32_e32 v0, v2, v0
	v_fmamk_f32 v2, v95, 0x3dbcf732, v51
	v_sub_f32_e32 v139, v30, v12
	v_add_f32_e32 v101, v12, v30
	v_mul_f32_e32 v54, 0xbf763a35, v140
	v_sub_f32_e32 v155, v25, v7
	v_mul_f32_e32 v53, 0xbf2c7751, v38
	v_add_f32_e32 v1, v3, v1
	v_fma_f32 v3, 0x3dbcf732, v98, -v52
	v_add_f32_e32 v0, v2, v0
	v_add_f32_e32 v102, v13, v31
	v_mul_f32_e32 v55, 0xbf763a35, v139
	v_fmamk_f32 v2, v101, 0xbe8c1d8e, v54
	v_sub_f32_e32 v154, v24, v6
	v_add_f32_e32 v104, v6, v24
	v_mul_f32_e32 v56, 0xbf4c4adb, v155
	v_sub_f32_e32 v158, v27, v5
	v_mul_f32_e32 v79, 0xbf2c7751, v39
	v_add_f32_e32 v1, v3, v1
	v_fma_f32 v3, 0xbe8c1d8e, v102, -v55
	v_add_f32_e32 v105, v7, v25
	v_mul_f32_e32 v57, 0xbf4c4adb, v154
	v_add_f32_e32 v0, v2, v0
	v_fmamk_f32 v2, v104, 0xbf1a4643, v56
	v_sub_f32_e32 v157, v26, v4
	v_add_f32_e32 v111, v4, v26
	v_mul_f32_e32 v58, 0xbf06c442, v158
	v_fmamk_f32 v62, v84, 0x3f3d2fb0, v53
	v_mul_f32_e32 v66, 0xbf7ee86f, v41
	v_fma_f32 v63, 0x3f3d2fb0, v85, -v79
	v_mul_f32_e32 v82, 0xbf7ee86f, v40
	v_add_f32_e32 v1, v3, v1
	v_fma_f32 v3, 0xbf1a4643, v105, -v57
	v_add_f32_e32 v0, v2, v0
	v_add_f32_e32 v114, v5, v27
	v_mul_f32_e32 v59, 0xbf06c442, v157
	v_fmamk_f32 v2, v111, 0xbf59a7d5, v58
	v_add_f32_e32 v62, v62, v20
	v_fmamk_f32 v64, v87, 0x3dbcf732, v66
	v_add_f32_e32 v63, v63, v21
	v_fma_f32 v65, 0x3dbcf732, v97, -v82
	v_mul_f32_e32 v67, 0xbf4c4adb, v43
	v_mul_f32_e32 v77, 0xbf4c4adb, v42
	v_add_f32_e32 v1, v3, v1
	v_fma_f32 v3, 0xbf59a7d5, v114, -v59
	v_add_f32_e32 v0, v2, v0
	v_add_f32_e32 v2, v64, v62
	;; [unrolled: 1-line block ×3, first 2 shown]
	v_fmamk_f32 v63, v109, 0xbf1a4643, v67
	v_fma_f32 v64, 0xbf1a4643, v110, -v77
	v_mul_f32_e32 v75, 0xbe3c28d5, v136
	v_mul_f32_e32 v78, 0xbe3c28d5, v92
	v_sub_f32_e32 v168, v9, v11
	v_add_f32_e32 v1, v3, v1
	v_add_f32_e32 v2, v63, v2
	;; [unrolled: 1-line block ×3, first 2 shown]
	v_fmamk_f32 v62, v95, 0xbf7ba420, v75
	v_fma_f32 v63, 0xbf7ba420, v98, -v78
	v_mul_f32_e32 v76, 0x3f06c442, v140
	v_mul_f32_e32 v81, 0x3f06c442, v139
	v_sub_f32_e32 v167, v8, v10
	v_add_f32_e32 v117, v10, v8
	v_mul_f32_e32 v60, 0xbe3c28d5, v168
	v_add_f32_e32 v2, v62, v2
	v_add_f32_e32 v3, v63, v3
	v_fmamk_f32 v63, v101, 0xbf59a7d5, v76
	v_fma_f32 v64, 0xbf59a7d5, v102, -v81
	v_mul_f32_e32 v62, 0x3f763a35, v155
	v_mul_f32_e32 v83, 0x3f763a35, v154
	v_add_f32_e32 v118, v11, v9
	v_mul_f32_e32 v61, 0xbe3c28d5, v167
	v_fmamk_f32 v65, v117, 0xbf7ba420, v60
	v_add_f32_e32 v70, v63, v2
	v_add_f32_e32 v3, v64, v3
	v_fmamk_f32 v71, v104, 0xbe8c1d8e, v62
	v_mul_f32_e32 v63, 0x3f65296c, v158
	v_fma_f32 v72, 0xbe8c1d8e, v105, -v83
	v_mul_f32_e32 v64, 0x3f65296c, v157
	v_fma_f32 v69, 0xbf7ba420, v118, -v61
	v_add_f32_e32 v2, v65, v0
	v_add_f32_e32 v0, v71, v70
	v_fmamk_f32 v65, v111, 0x3ee437d1, v63
	v_add_f32_e32 v70, v72, v3
	v_fma_f32 v71, 0x3ee437d1, v114, -v64
	v_mul_f32_e32 v93, 0xbf65296c, v38
	v_mul_f32_e32 v106, 0xbf65296c, v39
	v_add_f32_e32 v3, v69, v1
	v_add_f32_e32 v0, v65, v0
	;; [unrolled: 1-line block ×3, first 2 shown]
	v_mul_f32_e32 v65, 0x3eb8f4ab, v168
	v_fmamk_f32 v69, v84, 0x3ee437d1, v93
	v_mul_f32_e32 v99, 0xbf4c4adb, v41
	v_fma_f32 v70, 0x3ee437d1, v85, -v106
	v_mul_f32_e32 v107, 0xbf4c4adb, v40
	v_fmamk_f32 v71, v117, 0x3f6eb680, v65
	v_add_f32_e32 v69, v69, v20
	v_fmamk_f32 v72, v87, 0xbf1a4643, v99
	v_add_f32_e32 v70, v70, v21
	v_fma_f32 v73, 0xbf1a4643, v97, -v107
	v_mul_f32_e32 v100, 0x3e3c28d5, v43
	v_mul_f32_e32 v108, 0x3e3c28d5, v42
	v_add_f32_e32 v0, v71, v0
	v_add_f32_e32 v69, v72, v69
	;; [unrolled: 1-line block ×3, first 2 shown]
	v_fmamk_f32 v71, v109, 0xbf7ba420, v100
	v_fma_f32 v72, 0xbf7ba420, v110, -v108
	v_mul_f32_e32 v96, 0x3f763a35, v136
	v_mul_f32_e32 v112, 0x3f763a35, v92
	;; [unrolled: 1-line block ×3, first 2 shown]
	v_add_f32_e32 v69, v71, v69
	v_add_f32_e32 v70, v72, v70
	v_fmamk_f32 v71, v95, 0xbe8c1d8e, v96
	v_fma_f32 v72, 0xbe8c1d8e, v98, -v112
	v_mul_f32_e32 v115, 0x3f2c7751, v139
	v_mul_f32_e32 v80, 0x3eb8f4ab, v167
	;; [unrolled: 1-line block ×3, first 2 shown]
	v_add_f32_e32 v69, v71, v69
	v_add_f32_e32 v70, v72, v70
	v_fmamk_f32 v71, v101, 0x3f3d2fb0, v86
	v_fma_f32 v72, 0x3f3d2fb0, v102, -v115
	v_mul_f32_e32 v113, 0xbeb8f4ab, v154
	v_fma_f32 v73, 0x3f6eb680, v118, -v80
	v_mul_f32_e32 v94, 0xbf7ee86f, v158
	v_add_f32_e32 v69, v71, v69
	v_add_f32_e32 v70, v72, v70
	v_fmamk_f32 v71, v104, 0x3f6eb680, v88
	v_fma_f32 v72, 0x3f6eb680, v105, -v113
	v_mul_f32_e32 v116, 0xbf7ee86f, v157
	v_mul_f32_e32 v122, 0xbf7ee86f, v38
	v_add_f32_e32 v1, v73, v1
	v_add_f32_e32 v69, v71, v69
	;; [unrolled: 1-line block ×3, first 2 shown]
	v_fmamk_f32 v71, v111, 0x3dbcf732, v94
	v_fma_f32 v72, 0x3dbcf732, v114, -v116
	v_fmamk_f32 v73, v84, 0x3dbcf732, v122
	v_mul_f32_e32 v123, 0xbe3c28d5, v41
	v_mul_f32_e32 v132, 0xbf7ee86f, v39
	v_add_f32_e32 v69, v71, v69
	v_add_f32_e32 v70, v72, v70
	;; [unrolled: 1-line block ×3, first 2 shown]
	v_fmamk_f32 v72, v87, 0xbf7ba420, v123
	v_fma_f32 v73, 0x3dbcf732, v85, -v132
	v_mul_f32_e32 v133, 0xbe3c28d5, v40
	v_mul_f32_e32 v120, 0x3f763a35, v43
	v_mul_f32_e32 v134, 0x3f763a35, v42
	v_add_f32_e32 v71, v72, v71
	v_add_f32_e32 v72, v73, v21
	v_fma_f32 v73, 0xbf7ba420, v97, -v133
	v_fmamk_f32 v74, v109, 0xbe8c1d8e, v120
	v_mul_f32_e32 v121, 0x3eb8f4ab, v136
	v_mul_f32_e32 v131, 0x3eb8f4ab, v92
	v_mul_f32_e32 v124, 0xbf65296c, v140
	v_add_f32_e32 v72, v73, v72
	v_add_f32_e32 v71, v74, v71
	v_fma_f32 v73, 0xbe8c1d8e, v110, -v134
	v_fmamk_f32 v74, v95, 0x3f6eb680, v121
	;; [unrolled: 7-line block ×3, first 2 shown]
	v_fmamk_f32 v119, v117, 0xbf59a7d5, v103
	v_mul_f32_e32 v129, 0xbf06c442, v154
	v_mul_f32_e32 v125, 0x3f4c4adb, v158
	v_add_f32_e32 v72, v73, v72
	v_add_f32_e32 v71, v74, v71
	v_fma_f32 v73, 0x3ee437d1, v102, -v128
	v_fmamk_f32 v74, v104, 0xbf59a7d5, v126
	v_add_f32_e32 v69, v119, v69
	v_mul_f32_e32 v119, 0xbf06c442, v167
	v_mul_f32_e32 v130, 0x3f4c4adb, v157
	v_add_f32_e32 v72, v73, v72
	v_add_f32_e32 v71, v74, v71
	v_fma_f32 v73, 0xbf59a7d5, v105, -v129
	v_fmamk_f32 v74, v111, 0xbf1a4643, v125
	v_mul_f32_e32 v137, 0xbf763a35, v38
	v_fma_f32 v127, 0xbf59a7d5, v118, -v119
	v_mul_f32_e32 v138, 0x3f06c442, v41
	v_add_f32_e32 v72, v73, v72
	v_fma_f32 v73, 0xbf1a4643, v114, -v130
	v_add_f32_e32 v71, v74, v71
	v_fmamk_f32 v74, v84, 0xbe8c1d8e, v137
	v_mul_f32_e32 v148, 0xbf763a35, v39
	v_add_f32_e32 v70, v127, v70
	v_add_f32_e32 v72, v73, v72
	v_mul_f32_e32 v127, 0x3f2c7751, v168
	v_add_f32_e32 v73, v74, v20
	v_fmamk_f32 v74, v87, 0xbf59a7d5, v138
	v_fma_f32 v135, 0xbe8c1d8e, v85, -v148
	v_mul_f32_e32 v150, 0x3f06c442, v40
	v_mul_f32_e32 v141, 0x3f2c7751, v43
	v_fmamk_f32 v143, v117, 0x3f3d2fb0, v127
	v_add_f32_e32 v73, v74, v73
	v_add_f32_e32 v74, v135, v21
	v_fma_f32 v135, 0xbf59a7d5, v97, -v150
	v_fmamk_f32 v144, v109, 0x3f3d2fb0, v141
	v_mul_f32_e32 v146, 0x3f2c7751, v42
	v_mul_f32_e32 v142, 0xbf65296c, v136
	v_add_f32_e32 v71, v143, v71
	v_add_f32_e32 v74, v135, v74
	v_add_f32_e32 v73, v144, v73
	v_fma_f32 v143, 0x3f3d2fb0, v110, -v146
	v_fmamk_f32 v145, v95, 0x3ee437d1, v142
	v_mul_f32_e32 v147, 0xbf65296c, v92
	v_mul_f32_e32 v144, 0xbe3c28d5, v140
	;; [unrolled: 1-line block ×3, first 2 shown]
	v_add_f32_e32 v74, v143, v74
	v_add_f32_e32 v73, v145, v73
	v_fma_f32 v145, 0x3ee437d1, v98, -v147
	v_fmamk_f32 v151, v101, 0xbf7ba420, v144
	v_mul_f32_e32 v143, 0x3f7ee86f, v155
	v_mul_f32_e32 v149, 0xbe3c28d5, v139
	v_fma_f32 v153, 0x3f3d2fb0, v118, -v135
	v_add_f32_e32 v74, v145, v74
	v_add_f32_e32 v73, v151, v73
	v_fmamk_f32 v156, v104, 0x3dbcf732, v143
	v_mul_f32_e32 v145, 0xbeb8f4ab, v158
	v_fma_f32 v151, 0xbf7ba420, v102, -v149
	v_mul_f32_e32 v152, 0x3f7ee86f, v154
	v_mul_f32_e32 v164, 0xbf4c4adb, v38
	v_add_f32_e32 v73, v156, v73
	v_fmamk_f32 v156, v111, 0x3f6eb680, v145
	v_mul_f32_e32 v169, 0xbf4c4adb, v39
	v_add_f32_e32 v72, v153, v72
	v_add_f32_e32 v74, v151, v74
	v_fma_f32 v153, 0x3dbcf732, v105, -v152
	v_mul_f32_e32 v151, 0xbeb8f4ab, v157
	v_add_f32_e32 v73, v156, v73
	v_fmamk_f32 v156, v84, 0xbf1a4643, v164
	v_mul_f32_e32 v165, 0x3f763a35, v41
	v_fma_f32 v159, 0xbf1a4643, v85, -v169
	v_mul_f32_e32 v171, 0x3f763a35, v40
	v_add_f32_e32 v74, v153, v74
	v_fma_f32 v153, 0x3f6eb680, v114, -v151
	v_add_f32_e32 v156, v156, v20
	v_fmamk_f32 v160, v87, 0xbe8c1d8e, v165
	v_add_f32_e32 v159, v159, v21
	v_fma_f32 v161, 0xbe8c1d8e, v97, -v171
	v_mul_f32_e32 v162, 0xbeb8f4ab, v43
	v_mul_f32_e32 v170, 0xbeb8f4ab, v42
	v_add_f32_e32 v74, v153, v74
	v_mul_f32_e32 v153, 0xbf4c4adb, v168
	v_add_f32_e32 v156, v160, v156
	v_add_f32_e32 v160, v161, v159
	v_fmamk_f32 v161, v109, 0x3f6eb680, v162
	v_fma_f32 v163, 0x3f6eb680, v110, -v170
	v_mul_f32_e32 v159, 0xbf06c442, v136
	v_mul_f32_e32 v172, 0xbf06c442, v92
	v_fmamk_f32 v166, v117, 0xbf1a4643, v153
	v_add_f32_e32 v156, v161, v156
	v_add_f32_e32 v161, v163, v160
	v_fmamk_f32 v163, v95, 0xbf59a7d5, v159
	v_fma_f32 v173, 0xbf59a7d5, v98, -v172
	v_mul_f32_e32 v160, 0x3f7ee86f, v140
	v_mul_f32_e32 v174, 0x3f7ee86f, v139
	v_add_f32_e32 v73, v166, v73
	v_add_f32_e32 v163, v163, v156
	;; [unrolled: 1-line block ×3, first 2 shown]
	v_fmamk_f32 v173, v101, 0x3dbcf732, v160
	v_fma_f32 v176, 0x3dbcf732, v102, -v174
	v_mul_f32_e32 v161, 0xbf2c7751, v155
	v_mul_f32_e32 v180, 0xbf06c442, v38
	;; [unrolled: 1-line block ×3, first 2 shown]
	v_add_f32_e32 v177, v173, v163
	v_add_f32_e32 v166, v176, v166
	v_fmamk_f32 v176, v104, 0x3f3d2fb0, v161
	v_mul_f32_e32 v175, 0xbf2c7751, v154
	v_mul_f32_e32 v156, 0xbf4c4adb, v167
	;; [unrolled: 1-line block ×3, first 2 shown]
	v_fma_f32 v183, 0xbf59a7d5, v85, -v185
	v_add_f32_e32 v181, v176, v177
	v_fmamk_f32 v177, v84, 0xbf59a7d5, v180
	v_mul_f32_e32 v187, 0x3f65296c, v40
	v_fma_f32 v178, 0x3f3d2fb0, v105, -v175
	v_mul_f32_e32 v163, 0xbe3c28d5, v158
	v_fma_f32 v179, 0xbf1a4643, v118, -v156
	v_add_f32_e32 v177, v177, v20
	v_fmamk_f32 v188, v87, 0x3ee437d1, v182
	v_add_f32_e32 v190, v183, v21
	v_fma_f32 v191, 0x3ee437d1, v97, -v187
	v_mul_f32_e32 v183, 0xbf7ee86f, v43
	v_mul_f32_e32 v189, 0xbf7ee86f, v42
	;; [unrolled: 1-line block ×3, first 2 shown]
	v_add_f32_e32 v184, v178, v166
	v_fmamk_f32 v178, v111, 0xbf7ba420, v163
	v_add_f32_e32 v74, v179, v74
	v_add_f32_e32 v179, v188, v177
	;; [unrolled: 1-line block ×3, first 2 shown]
	v_fmamk_f32 v191, v109, 0x3dbcf732, v183
	v_fma_f32 v192, 0x3dbcf732, v110, -v189
	v_mul_f32_e32 v177, 0x3f4c4adb, v136
	v_mul_f32_e32 v190, 0x3f4c4adb, v92
	v_fma_f32 v186, 0xbf7ba420, v114, -v173
	v_add_f32_e32 v193, v178, v181
	v_add_f32_e32 v179, v191, v179
	;; [unrolled: 1-line block ×3, first 2 shown]
	v_fmamk_f32 v188, v95, 0xbf1a4643, v177
	v_fma_f32 v192, 0xbf1a4643, v98, -v190
	v_mul_f32_e32 v178, 0xbeb8f4ab, v140
	v_mul_f32_e32 v191, 0xbeb8f4ab, v139
	v_add_f32_e32 v204, v186, v184
	v_add_f32_e32 v179, v188, v179
	v_add_f32_e32 v184, v192, v181
	v_fmamk_f32 v188, v101, 0x3f6eb680, v178
	v_fma_f32 v192, 0x3f6eb680, v102, -v191
	v_mul_f32_e32 v181, 0xbe3c28d5, v155
	v_mul_f32_e32 v166, 0x3f65296c, v168
	v_mul_f32_e32 v186, 0xbe3c28d5, v154
	v_add_f32_e32 v194, v188, v179
	v_add_f32_e32 v184, v192, v184
	v_fmamk_f32 v192, v104, 0xbf7ba420, v181
	v_mul_f32_e32 v179, 0x3f2c7751, v158
	v_fmamk_f32 v195, v117, 0x3ee437d1, v166
	v_fma_f32 v196, 0xbf7ba420, v105, -v186
	v_mul_f32_e32 v188, 0x3f2c7751, v157
	v_add_f32_e32 v192, v192, v194
	v_fmamk_f32 v197, v111, 0x3f3d2fb0, v179
	v_mul_f32_e32 v194, 0xbe3c28d5, v38
	v_add_f32_e32 v184, v196, v184
	v_fma_f32 v196, 0x3f3d2fb0, v114, -v188
	v_add_f32_e32 v38, v195, v193
	v_add_f32_e32 v206, v197, v192
	v_mul_f32_e32 v197, 0xbe3c28d5, v39
	v_fmamk_f32 v39, v84, 0xbf7ba420, v194
	v_mul_f32_e32 v195, 0x3eb8f4ab, v41
	v_mul_f32_e32 v198, 0x3eb8f4ab, v40
	v_add_f32_e32 v207, v196, v184
	v_fma_f32 v41, 0xbf7ba420, v85, -v197
	v_add_f32_e32 v39, v39, v20
	v_fmamk_f32 v40, v87, 0x3f6eb680, v195
	v_mul_f32_e32 v196, 0xbf06c442, v43
	v_fma_f32 v43, 0x3f6eb680, v97, -v198
	v_add_f32_e32 v41, v41, v21
	v_mul_f32_e32 v199, 0xbf06c442, v42
	v_add_f32_e32 v39, v40, v39
	v_fmamk_f32 v40, v109, 0xbf59a7d5, v196
	v_mul_f32_e32 v192, 0x3f2c7751, v136
	v_add_f32_e32 v41, v43, v41
	v_fma_f32 v42, 0xbf59a7d5, v110, -v199
	v_mul_f32_e32 v201, 0x3f2c7751, v92
	v_add_f32_e32 v39, v40, v39
	v_fmamk_f32 v40, v95, 0x3f3d2fb0, v192
	v_mul_f32_e32 v193, 0xbf4c4adb, v140
	v_add_f32_e32 v41, v42, v41
	v_fma_f32 v42, 0x3f3d2fb0, v98, -v201
	;; [unrolled: 6-line block ×4, first 2 shown]
	v_mul_f32_e32 v202, 0xbf763a35, v157
	s_clause 0x1
	s_load_dwordx2 s[6:7], s[4:5], 0x20
	s_load_dwordx2 s[2:3], s[4:5], 0x8
	v_mul_f32_e32 v176, 0x3f65296c, v167
	v_mul_f32_e32 v184, 0xbf763a35, v168
	;; [unrolled: 1-line block ×3, first 2 shown]
	v_add_f32_e32 v39, v40, v39
	v_add_f32_e32 v40, v42, v41
	v_fmamk_f32 v41, v111, 0xbe8c1d8e, v158
	v_fma_f32 v42, 0xbe8c1d8e, v114, -v202
	v_mul_f32_e32 v157, 0x3f7ee86f, v168
	v_mul_f32_e32 v167, 0x3f7ee86f, v167
	v_fma_f32 v205, 0x3ee437d1, v118, -v176
	v_fmamk_f32 v43, v117, 0xbe8c1d8e, v184
	v_fma_f32 v92, 0xbe8c1d8e, v118, -v154
	v_add_f32_e32 v136, v41, v39
	v_add_f32_e32 v139, v42, v40
	v_fmamk_f32 v42, v117, 0x3dbcf732, v157
	v_fma_f32 v140, 0x3dbcf732, v118, -v167
	v_add_f32_e32 v39, v205, v204
	v_add_f32_e32 v40, v43, v206
	;; [unrolled: 1-line block ×5, first 2 shown]
	v_mul_lo_u16 v206, v90, 17
	s_waitcnt lgkmcnt(0)
	s_barrier
	buffer_gl0_inv
	s_and_saveexec_b32 s0, vcc_lo
	s_cbranch_execz .LBB0_7
; %bb.6:
	v_add_f32_e32 v23, v23, v21
	v_mul_f32_e32 v92, 0x3f6eb680, v84
	v_mul_f32_e32 v215, 0xbf7ba420, v85
	;; [unrolled: 1-line block ×4, first 2 shown]
	v_add_f32_e32 v23, v33, v23
	buffer_store_dword v92, off, s[16:19], 0 ; 4-byte Folded Spill
	v_add_f32_e32 v197, v197, v215
	v_add_f32_e32 v198, v198, v229
	v_mul_f32_e32 v214, 0xbf7ba420, v84
	v_add_f32_e32 v23, v35, v23
	v_mul_f32_e32 v228, 0x3f6eb680, v87
	v_add_f32_e32 v197, v197, v21
	v_mul_f32_e32 v253, 0x3ee437d1, v105
	v_sub_f32_e32 v194, v214, v194
	v_add_f32_e32 v23, v29, v23
	v_mul_f32_e32 v213, 0xbf59a7d5, v85
	v_add_f32_e32 v197, v198, v197
	v_add_f32_e32 v198, v199, v243
	v_mul_f32_e32 v199, 0x3f3d2fb0, v98
	v_add_f32_e32 v23, v31, v23
	buffer_load_dword v31, off, s[16:19], 0 ; 4-byte Folded Reload
	v_mul_f32_e32 v242, 0xbf59a7d5, v109
	v_add_f32_e32 v197, v198, v197
	v_add_f32_e32 v198, v201, v199
	v_mul_f32_e32 v199, 0xbf1a4643, v102
	v_add_f32_e32 v200, v200, v253
	v_mul_f32_e32 v253, 0xbe8c1d8e, v114
	v_sub_f32_e32 v195, v228, v195
	v_add_f32_e32 v197, v198, v197
	v_add_f32_e32 v198, v203, v199
	;; [unrolled: 1-line block ×3, first 2 shown]
	v_mul_f32_e32 v140, 0x3f3d2fb0, v84
	v_mul_f32_e32 v204, 0x3ee437d1, v84
	v_mov_b32_e32 v136, v47
	v_add_f32_e32 v197, v198, v197
	v_mov_b32_e32 v47, v45
	v_mul_f32_e32 v45, 0x3dbcf732, v84
	v_mul_f32_e32 v208, 0xbe8c1d8e, v84
	;; [unrolled: 1-line block ×27, first 2 shown]
	v_add_f32_e32 v197, v200, v197
	v_add_f32_e32 v202, v202, v253
	;; [unrolled: 1-line block ×3, first 2 shown]
	v_sub_f32_e32 v196, v242, v196
	v_add_f32_e32 v185, v185, v213
	v_mul_f32_e32 v241, 0x3dbcf732, v110
	v_mul_f32_e32 v201, 0xbe8c1d8e, v101
	v_mul_f32_e32 v203, 0xbf59a7d5, v101
	v_mul_f32_e32 v198, 0x3f3d2fb0, v101
	v_mul_f32_e32 v228, 0x3ee437d1, v101
	v_mul_f32_e32 v253, 0xbf7ba420, v101
	v_add_f32_e32 v197, v202, v197
	v_mul_f32_e32 v202, 0x3dbcf732, v101
	v_add_f32_e32 v194, v196, v194
	v_mul_f32_e32 v196, 0x3f6eb680, v101
	v_mul_f32_e32 v101, 0xbf1a4643, v101
	v_sub_f32_e32 v95, v95, v192
	v_add_f32_e32 v187, v187, v227
	v_add_f32_e32 v185, v185, v21
	v_mul_f32_e32 v139, 0x3f6eb680, v85
	v_mul_f32_e32 v168, 0x3f3d2fb0, v85
	;; [unrolled: 1-line block ×26, first 2 shown]
	v_add_f32_e32 v95, v95, v194
	v_sub_f32_e32 v101, v101, v193
	v_add_f32_e32 v185, v187, v185
	v_mul_f32_e32 v187, 0x3ee437d1, v104
	v_add_f32_e32 v189, v189, v241
	v_mul_f32_e32 v199, 0xbe8c1d8e, v102
	v_mul_f32_e32 v252, 0xbf59a7d5, v102
	;; [unrolled: 1-line block ×5, first 2 shown]
	v_add_f32_e32 v167, v167, v195
	v_mul_f32_e32 v195, 0x3dbcf732, v102
	v_mul_f32_e32 v102, 0x3f6eb680, v102
	v_add_f32_e32 v95, v101, v95
	v_sub_f32_e32 v101, v187, v155
	v_add_f32_e32 v185, v189, v185
	v_mul_f32_e32 v187, 0xbe8c1d8e, v111
	v_add_f32_e32 v98, v190, v98
	v_add_f32_e32 v102, v191, v102
	;; [unrolled: 1-line block ×3, first 2 shown]
	v_mul_f32_e32 v192, 0xbf1a4643, v105
	v_sub_f32_e32 v101, v187, v158
	v_add_f32_e32 v98, v98, v185
	v_mul_f32_e32 v194, 0xbe8c1d8e, v105
	v_mul_f32_e32 v241, 0x3f6eb680, v105
	;; [unrolled: 1-line block ×6, first 2 shown]
	v_add_f32_e32 v191, v101, v95
	v_add_f32_e32 v95, v102, v98
	v_sub_f32_e32 v98, v212, v180
	v_add_f32_e32 v169, v169, v211
	v_add_f32_e32 v101, v186, v105
	v_sub_f32_e32 v105, v226, v182
	v_add_f32_e32 v171, v171, v225
	v_add_f32_e32 v98, v98, v20
	;; [unrolled: 1-line block ×4, first 2 shown]
	v_mul_f32_e32 v102, 0x3f3d2fb0, v114
	v_add_f32_e32 v170, v170, v239
	v_add_f32_e32 v95, v105, v98
	v_sub_f32_e32 v98, v240, v183
	v_add_f32_e32 v169, v171, v169
	v_mul_f32_e32 v213, 0xbf1a4643, v104
	v_mul_f32_e32 v227, 0xbe8c1d8e, v104
	;; [unrolled: 1-line block ×3, first 2 shown]
	v_add_f32_e32 v95, v98, v95
	v_sub_f32_e32 v98, v251, v177
	v_mul_f32_e32 v254, 0xbf59a7d5, v104
	v_mul_f32_e32 v189, 0x3dbcf732, v104
	;; [unrolled: 1-line block ×4, first 2 shown]
	v_add_f32_e32 v102, v188, v102
	v_add_f32_e32 v95, v98, v95
	v_sub_f32_e32 v98, v196, v178
	v_add_f32_e32 v169, v170, v169
	v_add_f32_e32 v172, v172, v250
	;; [unrolled: 1-line block ×3, first 2 shown]
	v_mul_f32_e32 v195, 0xbe8c1d8e, v118
	v_mul_f32_e32 v187, 0x3dbcf732, v117
	;; [unrolled: 1-line block ×9, first 2 shown]
	v_add_f32_e32 v98, v98, v95
	v_sub_f32_e32 v104, v104, v181
	v_add_f32_e32 v169, v172, v169
	v_add_f32_e32 v101, v102, v101
	v_add_f32_e32 v102, v154, v195
	v_sub_f32_e32 v157, v187, v157
	v_mul_f32_e32 v187, 0xbf59a7d5, v114
	v_mul_f32_e32 v180, 0x3ee437d1, v114
	;; [unrolled: 1-line block ×13, first 2 shown]
	v_add_f32_e32 v98, v104, v98
	v_sub_f32_e32 v104, v111, v179
	v_add_f32_e32 v111, v174, v169
	v_add_f32_e32 v154, v175, v185
	;; [unrolled: 1-line block ×3, first 2 shown]
	v_sub_f32_e32 v101, v210, v164
	v_mul_f32_e32 v177, 0xbf7ba420, v118
	v_mul_f32_e32 v226, 0x3f6eb680, v118
	;; [unrolled: 1-line block ×6, first 2 shown]
	v_add_f32_e32 v98, v104, v98
	v_sub_f32_e32 v104, v117, v184
	v_add_f32_e32 v111, v154, v111
	v_add_f32_e32 v114, v173, v114
	;; [unrolled: 1-line block ×3, first 2 shown]
	v_sub_f32_e32 v154, v224, v165
	v_add_f32_e32 v101, v104, v98
	v_add_f32_e32 v98, v148, v209
	;; [unrolled: 1-line block ×5, first 2 shown]
	v_sub_f32_e32 v117, v238, v162
	v_sub_f32_e32 v53, v140, v53
	v_add_f32_e32 v22, v22, v20
	v_add_f32_e32 v118, v98, v21
	;; [unrolled: 1-line block ×5, first 2 shown]
	v_sub_f32_e32 v114, v243, v159
	v_add_f32_e32 v53, v53, v20
	v_sub_f32_e32 v66, v216, v66
	v_add_f32_e32 v22, v32, v22
	;; [unrolled: 2-line block ×3, first 2 shown]
	v_add_f32_e32 v118, v146, v237
	v_add_f32_e32 v111, v114, v111
	v_sub_f32_e32 v114, v202, v160
	v_add_f32_e32 v53, v66, v53
	v_sub_f32_e32 v66, v230, v67
	v_add_f32_e32 v22, v34, v22
	v_add_f32_e32 v104, v104, v20
	v_sub_f32_e32 v137, v222, v138
	v_add_f32_e32 v117, v118, v117
	v_add_f32_e32 v118, v147, v249
	v_add_f32_e32 v111, v114, v111
	v_sub_f32_e32 v114, v158, v161
	v_add_f32_e32 v53, v66, v53
	v_sub_f32_e32 v66, v215, v75
	v_add_f32_e32 v28, v28, v22
	v_add_f32_e32 v104, v137, v104
	v_sub_f32_e32 v137, v236, v141
	v_add_f32_e32 v117, v118, v117
	;; [unrolled: 9-line block ×3, first 2 shown]
	v_add_f32_e32 v118, v152, v190
	v_add_f32_e32 v111, v114, v111
	v_add_f32_e32 v114, v132, v207
	v_sub_f32_e32 v93, v204, v93
	v_add_f32_e32 v53, v66, v53
	v_sub_f32_e32 v32, v227, v62
	v_add_f32_e32 v23, v25, v23
	v_add_f32_e32 v24, v24, v28
	;; [unrolled: 1-line block ×3, first 2 shown]
	v_sub_f32_e32 v137, v253, v144
	v_add_f32_e32 v117, v118, v117
	v_add_f32_e32 v118, v151, v183
	;; [unrolled: 1-line block ×5, first 2 shown]
	v_sub_f32_e32 v99, v218, v99
	v_add_f32_e32 v32, v32, v53
	v_sub_f32_e32 v34, v92, v63
	v_add_f32_e32 v23, v27, v23
	v_add_f32_e32 v24, v26, v24
	;; [unrolled: 1-line block ×3, first 2 shown]
	v_sub_f32_e32 v132, v189, v143
	v_add_f32_e32 v117, v118, v117
	v_add_f32_e32 v118, v156, v181
	;; [unrolled: 1-line block ×4, first 2 shown]
	v_sub_f32_e32 v122, v45, v122
	v_add_f32_e32 v106, v106, v205
	v_add_f32_e32 v93, v99, v93
	v_sub_f32_e32 v99, v232, v100
	v_add_f32_e32 v79, v79, v168
	v_add_f32_e32 v29, v34, v32
	;; [unrolled: 1-line block ×6, first 2 shown]
	v_sub_f32_e32 v132, v105, v145
	v_add_f32_e32 v105, v118, v117
	v_add_f32_e32 v114, v133, v114
	v_add_f32_e32 v117, v131, v247
	v_add_f32_e32 v118, v122, v20
	v_sub_f32_e32 v122, v220, v123
	v_add_f32_e32 v106, v106, v21
	v_add_f32_e32 v93, v99, v93
	v_add_f32_e32 v99, v79, v21
	v_add_f32_e32 v21, v32, v21
	v_add_f32_e32 v25, v48, v85
	v_sub_f32_e32 v28, v84, v136
	v_add_f32_e32 v9, v11, v9
	;; [unrolled: 6-line block ×3, first 2 shown]
	v_add_f32_e32 v82, v82, v217
	v_add_f32_e32 v21, v25, v21
	;; [unrolled: 1-line block ×3, first 2 shown]
	v_sub_f32_e32 v23, v87, v49
	v_add_f32_e32 v5, v5, v9
	v_add_f32_e32 v4, v4, v8
	;; [unrolled: 1-line block ×5, first 2 shown]
	v_sub_f32_e32 v120, v229, v121
	v_add_f32_e32 v106, v107, v106
	v_add_f32_e32 v107, v108, v233
	;; [unrolled: 1-line block ×6, first 2 shown]
	v_sub_f32_e32 v11, v109, v51
	v_add_f32_e32 v5, v7, v5
	v_add_f32_e32 v4, v6, v4
	;; [unrolled: 1-line block ×5, first 2 shown]
	v_sub_f32_e32 v118, v228, v124
	v_add_f32_e32 v106, v107, v106
	v_add_f32_e32 v107, v112, v246
	v_sub_f32_e32 v96, v245, v96
	v_add_f32_e32 v77, v77, v82
	s_waitcnt vmcnt(0)
	v_sub_f32_e32 v31, v31, v47
	v_add_f32_e32 v78, v78, v244
	v_add_f32_e32 v8, v55, v199
	;; [unrolled: 1-line block ×7, first 2 shown]
	v_sub_f32_e32 v114, v254, v126
	v_add_f32_e32 v106, v107, v106
	v_add_f32_e32 v20, v28, v20
	;; [unrolled: 1-line block ×4, first 2 shown]
	v_sub_f32_e32 v86, v198, v86
	v_add_f32_e32 v77, v78, v77
	v_add_f32_e32 v10, v23, v20
	;; [unrolled: 1-line block ×7, first 2 shown]
	v_sub_f32_e32 v10, v201, v54
	v_add_f32_e32 v6, v8, v20
	v_add_f32_e32 v4, v14, v4
	;; [unrolled: 1-line block ×5, first 2 shown]
	v_sub_f32_e32 v9, v213, v56
	v_sub_f32_e32 v114, v188, v125
	v_add_f32_e32 v106, v107, v106
	v_add_f32_e32 v113, v113, v241
	;; [unrolled: 1-line block ×3, first 2 shown]
	v_sub_f32_e32 v88, v193, v88
	v_add_f32_e32 v77, v78, v77
	v_add_f32_e32 v78, v83, v194
	;; [unrolled: 1-line block ×5, first 2 shown]
	v_sub_f32_e32 v9, v255, v58
	v_add_f32_e32 v5, v17, v5
	v_add_f32_e32 v4, v16, v4
	;; [unrolled: 1-line block ×7, first 2 shown]
	v_sub_f32_e32 v82, v182, v94
	v_add_f32_e32 v76, v78, v77
	v_add_f32_e32 v64, v64, v180
	;; [unrolled: 1-line block ×5, first 2 shown]
	v_sub_f32_e32 v9, v225, v60
	v_add_f32_e32 v10, v19, v5
	v_add_f32_e32 v11, v18, v4
	v_and_b32_e32 v12, 0xffff, v206
	v_add_f32_e32 v106, v112, v106
	v_add_f32_e32 v112, v119, v178
	;; [unrolled: 1-line block ×3, first 2 shown]
	v_sub_f32_e32 v75, v239, v103
	v_add_f32_e32 v33, v64, v76
	v_add_f32_e32 v62, v80, v226
	v_sub_f32_e32 v30, v171, v65
	v_add_f32_e32 v104, v132, v104
	v_sub_f32_e32 v123, v240, v153
	v_sub_f32_e32 v100, v170, v127
	;; [unrolled: 1-line block ×3, first 2 shown]
	v_add_f32_e32 v5, v7, v6
	v_add_f32_e32 v4, v9, v8
	;; [unrolled: 1-line block ×4, first 2 shown]
	v_add_lshl_u32 v8, v44, v12, 3
	v_add_f32_e32 v79, v112, v106
	v_add_f32_e32 v78, v75, v67
	;; [unrolled: 1-line block ×9, first 2 shown]
	ds_write2_b64 v8, v[6:7], v[4:5] offset1:1
	ds_write2_b64 v8, v[21:22], v[78:79] offset0:2 offset1:3
	ds_write2_b64 v8, v[106:107], v[104:105] offset0:4 offset1:5
	;; [unrolled: 1-line block ×7, first 2 shown]
	ds_write_b64 v8, v[2:3] offset:128
.LBB0_7:
	s_or_b32 exec_lo, exec_lo, s0
	v_add_lshl_u32 v94, v44, v90, 3
	s_waitcnt lgkmcnt(0)
	s_waitcnt_vscnt null, 0x0
	s_barrier
	buffer_gl0_inv
	v_cmp_gt_u16_e64 s0, 34, v90
	v_add_nc_u32_e32 v5, 0x800, v94
	v_add_nc_u32_e32 v4, 0x400, v94
	ds_read2_b64 v[16:19], v94 offset1:51
	ds_read2_b64 v[12:15], v94 offset0:102 offset1:187
	ds_read2_b64 v[28:31], v5 offset0:118 offset1:169
	;; [unrolled: 1-line block ×3, first 2 shown]
	ds_read_b64 v[36:37], v94 offset:3808
	s_and_saveexec_b32 s1, s0
	s_cbranch_execz .LBB0_9
; %bb.8:
	ds_read2_b64 v[4:7], v4 offset0:25 offset1:212
	ds_read_b64 v[38:39], v94 offset:4216
	s_waitcnt lgkmcnt(1)
	v_mov_b32_e32 v42, v4
	v_mov_b32_e32 v43, v5
	;; [unrolled: 1-line block ×4, first 2 shown]
.LBB0_9:
	s_or_b32 exec_lo, exec_lo, s1
	v_add_nc_u16 v4, v90, 0x66
	v_and_b32_e32 v5, 0xff, v90
	v_add_nc_u16 v6, v90, 0x99
	v_add_nc_u16 v20, v90, 51
	v_mov_b32_e32 v21, 4
	v_and_b32_e32 v7, 0xff, v4
	v_mul_lo_u16 v5, 0xf1, v5
	v_and_b32_e32 v8, 0xff, v6
	v_mov_b32_e32 v45, 51
	v_mul_lo_u16 v7, 0xf1, v7
	v_lshrrev_b16 v46, 12, v5
	v_mul_lo_u16 v5, 0xf1, v8
	v_lshrrev_b16 v47, 12, v7
	v_and_b32_e32 v7, 0xff, v20
	v_mul_lo_u16 v8, v46, 17
	v_lshrrev_b16 v95, 12, v5
	v_mul_lo_u16 v5, v47, 17
	v_mul_lo_u16 v7, 0xf1, v7
	v_sub_nc_u16 v48, v90, v8
	v_mul_lo_u16 v8, v95, 17
	v_mul_u32_u24_sdwa v47, v47, v45 dst_sel:DWORD dst_unused:UNUSED_PAD src0_sel:WORD_0 src1_sel:DWORD
	v_sub_nc_u16 v49, v4, v5
	v_lshrrev_b16 v50, 12, v7
	v_lshlrev_b16 v4, 1, v48
	v_sub_nc_u16 v96, v6, v8
	v_mad_u16 v46, v46, 51, v48
	v_lshlrev_b32_sdwa v5, v21, v49 dst_sel:DWORD dst_unused:UNUSED_PAD src0_sel:DWORD src1_sel:BYTE_0
	v_mul_lo_u16 v6, v50, 17
	v_and_b32_e32 v4, 0xfe, v4
	v_lshlrev_b32_sdwa v7, v21, v96 dst_sel:DWORD dst_unused:UNUSED_PAD src0_sel:DWORD src1_sel:BYTE_0
	v_mul_u32_u24_sdwa v48, v50, v45 dst_sel:DWORD dst_unused:UNUSED_PAD src0_sel:WORD_0 src1_sel:DWORD
	global_load_dwordx4 v[8:11], v5, s[2:3]
	v_sub_nc_u16 v51, v20, v6
	v_lshlrev_b32_e32 v20, 3, v4
	global_load_dwordx4 v[4:7], v7, s[2:3]
	v_and_b32_e32 v46, 0xff, v46
	v_add_nc_u32_sdwa v47, v47, v49 dst_sel:DWORD dst_unused:UNUSED_PAD src0_sel:DWORD src1_sel:BYTE_0
	v_lshlrev_b32_sdwa v21, v21, v51 dst_sel:DWORD dst_unused:UNUSED_PAD src0_sel:DWORD src1_sel:BYTE_0
	v_add_nc_u32_sdwa v48, v48, v51 dst_sel:DWORD dst_unused:UNUSED_PAD src0_sel:DWORD src1_sel:BYTE_0
	s_clause 0x1
	global_load_dwordx4 v[24:27], v20, s[2:3]
	global_load_dwordx4 v[20:23], v21, s[2:3]
	v_add_lshl_u32 v99, v44, v46, 3
	v_add_lshl_u32 v98, v44, v48, 3
	;; [unrolled: 1-line block ×3, first 2 shown]
	s_load_dwordx4 s[4:7], s[6:7], 0x0
	s_waitcnt vmcnt(0) lgkmcnt(0)
	s_barrier
	buffer_gl0_inv
	v_mul_f32_e32 v48, v35, v9
	v_mul_f32_e32 v49, v34, v9
	;; [unrolled: 1-line block ×8, first 2 shown]
	v_fma_f32 v48, v34, v8, -v48
	v_mul_f32_e32 v54, v15, v25
	v_mul_f32_e32 v55, v14, v25
	;; [unrolled: 1-line block ×8, first 2 shown]
	v_fmac_f32_e32 v49, v35, v8
	v_fma_f32 v36, v36, v10, -v50
	v_fmac_f32_e32 v51, v37, v10
	v_fma_f32 v35, v40, v4, -v52
	;; [unrolled: 2-line block ×7, first 2 shown]
	v_fmac_f32_e32 v61, v31, v22
	v_add_f32_e32 v29, v12, v48
	v_add_f32_e32 v31, v48, v36
	v_sub_f32_e32 v40, v49, v51
	v_add_f32_e32 v32, v13, v49
	v_add_f32_e32 v33, v49, v51
	v_sub_f32_e32 v41, v48, v36
	v_add_f32_e32 v48, v35, v34
	v_add_f32_e32 v49, v47, v46
	v_add_f32_e32 v52, v37, v38
	v_sub_f32_e32 v53, v55, v57
	v_add_f32_e32 v54, v17, v55
	v_add_f32_e32 v55, v55, v57
	v_add_f32_e32 v58, v28, v39
	v_sub_f32_e32 v60, v59, v61
	v_add_f32_e32 v62, v19, v59
	v_add_f32_e32 v59, v59, v61
	v_sub_f32_e32 v14, v47, v46
	v_sub_f32_e32 v15, v35, v34
	v_add_f32_e32 v50, v16, v37
	v_sub_f32_e32 v56, v37, v38
	v_add_f32_e32 v37, v18, v28
	v_sub_f32_e32 v63, v28, v39
	v_add_f32_e32 v30, v29, v36
	v_fma_f32 v12, -0.5, v31, v12
	v_fmac_f32_e32 v13, -0.5, v33
	v_fma_f32 v28, -0.5, v48, v42
	v_fma_f32 v29, -0.5, v49, v43
	;; [unrolled: 1-line block ×5, first 2 shown]
	v_fmac_f32_e32 v19, -0.5, v59
	v_add_f32_e32 v31, v32, v51
	v_add_f32_e32 v32, v50, v38
	;; [unrolled: 1-line block ×4, first 2 shown]
	v_fmamk_f32 v38, v40, 0x3f5db3d7, v12
	v_fmac_f32_e32 v12, 0xbf5db3d7, v40
	v_fmamk_f32 v39, v41, 0xbf5db3d7, v13
	v_fmac_f32_e32 v13, 0x3f5db3d7, v41
	v_fmamk_f32 v40, v14, 0xbf5db3d7, v28
	v_fmamk_f32 v48, v53, 0x3f5db3d7, v16
	;; [unrolled: 1-line block ×4, first 2 shown]
	v_fmac_f32_e32 v16, 0xbf5db3d7, v53
	v_fmac_f32_e32 v17, 0x3f5db3d7, v56
	v_add_f32_e32 v37, v62, v61
	v_fmamk_f32 v50, v60, 0x3f5db3d7, v18
	v_fmamk_f32 v51, v63, 0xbf5db3d7, v19
	v_fmac_f32_e32 v18, 0xbf5db3d7, v60
	v_fmac_f32_e32 v19, 0x3f5db3d7, v63
	ds_write2_b64 v99, v[32:33], v[48:49] offset1:17
	ds_write_b64 v99, v[16:17] offset:272
	ds_write2_b64 v98, v[36:37], v[50:51] offset1:17
	ds_write_b64 v98, v[18:19] offset:272
	ds_write2_b64 v97, v[30:31], v[38:39] offset1:17
	ds_write_b64 v97, v[12:13] offset:272
	s_and_saveexec_b32 s1, s0
	s_cbranch_execz .LBB0_11
; %bb.10:
	v_mul_u32_u24_sdwa v12, v95, v45 dst_sel:DWORD dst_unused:UNUSED_PAD src0_sel:WORD_0 src1_sel:DWORD
	v_mul_f32_e32 v13, 0x3f5db3d7, v15
	v_add_f32_e32 v15, v43, v47
	v_mul_f32_e32 v14, 0x3f5db3d7, v14
	v_add_f32_e32 v16, v42, v35
	v_add_nc_u32_sdwa v17, v12, v96 dst_sel:DWORD dst_unused:UNUSED_PAD src0_sel:DWORD src1_sel:BYTE_0
	v_sub_f32_e32 v13, v29, v13
	v_add_f32_e32 v15, v15, v46
	v_add_f32_e32 v12, v14, v28
	;; [unrolled: 1-line block ×3, first 2 shown]
	v_add_lshl_u32 v16, v44, v17, 3
	ds_write2_b64 v16, v[14:15], v[12:13] offset1:17
	ds_write_b64 v16, v[40:41] offset:272
.LBB0_11:
	s_or_b32 exec_lo, exec_lo, s1
	v_mad_u64_u32 v[28:29], null, 0x50, v90, s[2:3]
	s_waitcnt lgkmcnt(0)
	s_barrier
	buffer_gl0_inv
	v_add_nc_u32_e32 v50, 0x400, v94
	v_add_nc_u32_e32 v58, 0x800, v94
	v_lshl_add_u32 v93, v90, 3, v91
	s_clause 0x4
	global_load_dwordx4 v[36:39], v[28:29], off offset:272
	global_load_dwordx4 v[32:35], v[28:29], off offset:288
	;; [unrolled: 1-line block ×5, first 2 shown]
	ds_read2_b64 v[42:45], v94 offset1:51
	ds_read_b64 v[62:63], v94 offset:816
	ds_read2_b64 v[46:49], v94 offset0:153 offset1:204
	ds_read2_b64 v[50:53], v50 offset0:127 offset1:178
	;; [unrolled: 1-line block ×4, first 2 shown]
	v_add_nc_u32_e32 v64, 0x400, v93
	v_add_nc_u32_e32 v65, 0x800, v93
	s_waitcnt vmcnt(4) lgkmcnt(5)
	v_mul_f32_e32 v66, v45, v37
	v_mul_f32_e32 v67, v44, v37
	s_waitcnt lgkmcnt(4)
	v_mul_f32_e32 v75, v63, v39
	v_mul_f32_e32 v76, v62, v39
	s_waitcnt vmcnt(3) lgkmcnt(3)
	v_mul_f32_e32 v80, v48, v35
	s_waitcnt vmcnt(2) lgkmcnt(2)
	v_mul_f32_e32 v83, v53, v19
	v_mul_f32_e32 v84, v52, v19
	s_waitcnt vmcnt(1) lgkmcnt(1)
	v_mul_f32_e32 v86, v54, v13
	;; [unrolled: 3-line block ×3, first 2 shown]
	v_mul_f32_e32 v101, v61, v31
	v_mul_f32_e32 v102, v60, v31
	v_fma_f32 v44, v44, v36, -v66
	v_fmac_f32_e32 v67, v45, v36
	v_mul_f32_e32 v77, v47, v33
	v_mul_f32_e32 v78, v46, v33
	;; [unrolled: 1-line block ×8, first 2 shown]
	v_fma_f32 v45, v62, v38, -v75
	v_fmac_f32_e32 v76, v63, v38
	v_fmac_f32_e32 v80, v49, v34
	v_fma_f32 v49, v52, v18, -v83
	v_fmac_f32_e32 v84, v53, v18
	v_fmac_f32_e32 v86, v55, v12
	;; [unrolled: 1-line block ×3, first 2 shown]
	v_fma_f32 v55, v58, v28, -v92
	v_fma_f32 v57, v60, v30, -v101
	v_fmac_f32_e32 v102, v61, v30
	v_add_f32_e32 v52, v42, v44
	v_add_f32_e32 v53, v43, v67
	v_fma_f32 v46, v46, v32, -v77
	v_fmac_f32_e32 v78, v47, v32
	v_fma_f32 v47, v48, v34, -v79
	v_fma_f32 v48, v50, v16, -v81
	v_fmac_f32_e32 v82, v51, v16
	v_fma_f32 v50, v54, v12, -v85
	v_fma_f32 v51, v56, v14, -v87
	v_fmac_f32_e32 v100, v59, v28
	v_add_f32_e32 v54, v44, v57
	v_sub_f32_e32 v44, v44, v57
	v_sub_f32_e32 v58, v67, v102
	v_add_f32_e32 v59, v45, v55
	v_sub_f32_e32 v61, v45, v55
	v_add_f32_e32 v45, v52, v45
	v_add_f32_e32 v52, v53, v76
	;; [unrolled: 1-line block ×4, first 2 shown]
	v_sub_f32_e32 v62, v76, v100
	v_add_f32_e32 v63, v46, v51
	v_sub_f32_e32 v67, v46, v51
	v_sub_f32_e32 v75, v78, v88
	;; [unrolled: 1-line block ×6, first 2 shown]
	v_mul_f32_e32 v53, 0xbf0a6770, v58
	v_mul_f32_e32 v76, 0xbf0a6770, v44
	;; [unrolled: 1-line block ×10, first 2 shown]
	v_add_f32_e32 v45, v45, v46
	v_add_f32_e32 v46, v52, v78
	;; [unrolled: 1-line block ×7, first 2 shown]
	v_mul_f32_e32 v109, 0xbf68dda4, v62
	v_mul_f32_e32 v110, 0xbf68dda4, v61
	v_mul_f32_e32 v111, 0xbf4178ce, v62
	v_mul_f32_e32 v112, 0xbf4178ce, v61
	v_mul_f32_e32 v113, 0x3e903f40, v62
	v_mul_f32_e32 v114, 0x3e903f40, v61
	v_mul_f32_e32 v115, 0x3f7d64f0, v62
	v_mul_f32_e32 v116, 0x3f7d64f0, v61
	v_mul_f32_e32 v62, 0x3f0a6770, v62
	v_mul_f32_e32 v61, 0x3f0a6770, v61
	v_mul_f32_e32 v117, 0xbf7d64f0, v75
	v_mul_f32_e32 v118, 0xbf7d64f0, v67
	v_mul_f32_e32 v119, 0x3e903f40, v75
	v_mul_f32_e32 v120, 0x3e903f40, v67
	v_mul_f32_e32 v121, 0x3f68dda4, v75
	v_mul_f32_e32 v122, 0x3f68dda4, v67
	v_mul_f32_e32 v123, 0xbf0a6770, v75
	v_mul_f32_e32 v124, 0xbf0a6770, v67
	v_mul_f32_e32 v75, 0xbf4178ce, v75
	v_mul_f32_e32 v67, 0xbf4178ce, v67
	v_mul_f32_e32 v125, 0xbf4178ce, v83
	v_mul_f32_e32 v126, 0xbf4178ce, v81
	v_mul_f32_e32 v127, 0x3f7d64f0, v83
	v_mul_f32_e32 v128, 0x3f7d64f0, v81
	v_mul_f32_e32 v129, 0xbf0a6770, v83
	v_mul_f32_e32 v130, 0xbf0a6770, v81
	v_mul_f32_e32 v131, 0xbe903f40, v83
	v_mul_f32_e32 v132, 0xbe903f40, v81
	v_mul_f32_e32 v83, 0x3f68dda4, v83
	v_mul_f32_e32 v81, 0x3f68dda4, v81
	v_mul_f32_e32 v133, 0xbe903f40, v101
	v_mul_f32_e32 v134, 0xbe903f40, v92
	v_mul_f32_e32 v135, 0x3f0a6770, v101
	v_mul_f32_e32 v136, 0x3f0a6770, v92
	v_mul_f32_e32 v137, 0xbf4178ce, v101
	v_mul_f32_e32 v138, 0xbf4178ce, v92
	v_mul_f32_e32 v139, 0x3f68dda4, v101
	v_mul_f32_e32 v140, 0x3f68dda4, v92
	v_mul_f32_e32 v101, 0xbf7d64f0, v101
	v_mul_f32_e32 v92, 0xbf7d64f0, v92
	v_fma_f32 v52, 0x3f575c64, v54, -v53
	v_fmamk_f32 v78, v56, 0x3f575c64, v76
	v_fmac_f32_e32 v53, 0x3f575c64, v54
	v_fma_f32 v76, 0x3f575c64, v56, -v76
	v_fma_f32 v141, 0x3ed4b147, v54, -v103
	v_fmamk_f32 v142, v56, 0x3ed4b147, v104
	v_fmac_f32_e32 v103, 0x3ed4b147, v54
	v_fma_f32 v104, 0x3ed4b147, v56, -v104
	;; [unrolled: 4-line block ×5, first 2 shown]
	v_add_f32_e32 v45, v45, v47
	v_add_f32_e32 v46, v46, v80
	v_fma_f32 v54, 0x3ed4b147, v59, -v109
	v_fmamk_f32 v56, v60, 0x3ed4b147, v110
	v_fmac_f32_e32 v109, 0x3ed4b147, v59
	v_fma_f32 v110, 0x3ed4b147, v60, -v110
	v_fma_f32 v149, 0xbf27a4f4, v59, -v111
	v_fmamk_f32 v150, v60, 0xbf27a4f4, v112
	v_fmac_f32_e32 v111, 0xbf27a4f4, v59
	v_fma_f32 v112, 0xbf27a4f4, v60, -v112
	;; [unrolled: 4-line block ×20, first 2 shown]
	v_add_f32_e32 v47, v42, v52
	v_add_f32_e32 v52, v43, v78
	;; [unrolled: 1-line block ×112, first 2 shown]
	ds_write_b64 v93, v[75:76]
	ds_write2_b64 v93, v[60:61], v[62:63] offset0:51 offset1:102
	ds_write2_b64 v93, v[52:53], v[54:55] offset0:153 offset1:204
	;; [unrolled: 1-line block ×5, first 2 shown]
	s_waitcnt lgkmcnt(0)
	s_barrier
	buffer_gl0_inv
	s_and_saveexec_b32 s2, vcc_lo
	s_cbranch_execz .LBB0_13
; %bb.12:
	v_add_co_u32 v79, s1, s12, v89
	v_add_co_ci_u32_e64 v80, null, s13, 0, s1
	v_add_nc_u32_e32 v92, 0xc00, v93
	v_add_co_u32 v42, s1, 0x1000, v79
	v_add_co_ci_u32_e64 v43, s1, 0, v80, s1
	v_add_co_u32 v66, s1, 0x1188, v79
	v_add_co_ci_u32_e64 v67, s1, 0, v80, s1
	global_load_dwordx2 v[42:43], v[42:43], off offset:392
	v_add_co_u32 v77, s1, 0x1800, v79
	v_add_co_ci_u32_e64 v78, s1, 0, v80, s1
	v_add_co_u32 v79, s1, 0x2000, v79
	s_clause 0x4
	global_load_dwordx2 v[120:121], v[66:67], off offset:264
	global_load_dwordx2 v[122:123], v[66:67], off offset:528
	;; [unrolled: 1-line block ×5, first 2 shown]
	v_add_co_ci_u32_e64 v80, s1, 0, v80, s1
	s_clause 0xa
	global_load_dwordx2 v[130:131], v[66:67], off offset:1584
	global_load_dwordx2 v[66:67], v[66:67], off offset:1848
	;; [unrolled: 1-line block ×11, first 2 shown]
	ds_read_b64 v[77:78], v93
	s_waitcnt vmcnt(16) lgkmcnt(0)
	v_mul_f32_e32 v79, v78, v43
	v_mul_f32_e32 v80, v77, v43
	v_fma_f32 v79, v77, v42, -v79
	v_fmac_f32_e32 v80, v78, v42
	ds_write_b64 v93, v[79:80]
	ds_read2_b64 v[77:80], v93 offset0:33 offset1:66
	ds_read2_b64 v[81:84], v93 offset0:99 offset1:132
	;; [unrolled: 1-line block ×8, first 2 shown]
	s_waitcnt vmcnt(15) lgkmcnt(7)
	v_mul_f32_e32 v42, v78, v121
	v_mul_f32_e32 v43, v77, v121
	s_waitcnt vmcnt(14)
	v_mul_f32_e32 v150, v80, v123
	v_mul_f32_e32 v121, v79, v123
	s_waitcnt vmcnt(13) lgkmcnt(6)
	v_mul_f32_e32 v151, v82, v125
	v_mul_f32_e32 v123, v81, v125
	s_waitcnt vmcnt(12)
	v_mul_f32_e32 v152, v84, v127
	v_mul_f32_e32 v125, v83, v127
	;; [unrolled: 6-line block ×8, first 2 shown]
	v_fma_f32 v42, v77, v120, -v42
	v_fmac_f32_e32 v43, v78, v120
	v_fma_f32 v120, v79, v122, -v150
	v_fmac_f32_e32 v121, v80, v122
	;; [unrolled: 2-line block ×16, first 2 shown]
	ds_write2_b64 v93, v[42:43], v[120:121] offset0:33 offset1:66
	ds_write2_b64 v93, v[122:123], v[124:125] offset0:99 offset1:132
	;; [unrolled: 1-line block ×8, first 2 shown]
.LBB0_13:
	s_or_b32 exec_lo, exec_lo, s2
	s_waitcnt lgkmcnt(0)
	s_barrier
	buffer_gl0_inv
	s_and_saveexec_b32 s1, vcc_lo
	s_cbranch_execz .LBB0_15
; %bb.14:
	v_add_nc_u32_e32 v44, 0x800, v93
	v_add_nc_u32_e32 v0, 0xc00, v93
	;; [unrolled: 1-line block ×3, first 2 shown]
	ds_read2_b64 v[40:43], v44 offset0:107 offset1:140
	ds_read2_b64 v[64:67], v44 offset0:173 offset1:206
	;; [unrolled: 1-line block ×3, first 2 shown]
	ds_read_b64 v[75:76], v93
	ds_read2_b64 v[60:63], v93 offset0:33 offset1:66
	ds_read2_b64 v[52:55], v93 offset0:99 offset1:132
	;; [unrolled: 1-line block ×5, first 2 shown]
	s_waitcnt lgkmcnt(8)
	v_mov_b32_e32 v73, v42
	v_mov_b32_e32 v74, v43
	s_waitcnt lgkmcnt(7)
	v_mov_b32_e32 v71, v64
	v_mov_b32_e32 v72, v65
	;; [unrolled: 1-line block ×4, first 2 shown]
.LBB0_15:
	s_or_b32 exec_lo, exec_lo, s1
	s_waitcnt lgkmcnt(4)
	v_sub_f32_e32 v116, v61, v3
	v_add_f32_e32 v120, v3, v61
	v_add_f32_e32 v100, v2, v60
	v_sub_f32_e32 v101, v60, v2
	v_sub_f32_e32 v117, v63, v1
	v_mul_f32_e32 v79, 0xbf4c4adb, v116
	v_mul_f32_e32 v80, 0xbf1a4643, v120
	v_add_f32_e32 v122, v1, v63
	v_mul_f32_e32 v42, 0xbf06c442, v116
	v_mul_f32_e32 v43, 0xbf59a7d5, v120
	v_fma_f32 v64, 0xbf1a4643, v100, -v79
	v_fmamk_f32 v65, v101, 0xbf4c4adb, v80
	v_mul_f32_e32 v134, 0xbe3c28d5, v116
	v_add_f32_e32 v102, v0, v62
	v_sub_f32_e32 v103, v62, v0
	v_mul_f32_e32 v81, 0x3f763a35, v117
	v_mul_f32_e32 v82, 0xbe8c1d8e, v122
	v_fma_f32 v66, 0xbf59a7d5, v100, -v42
	v_fmamk_f32 v67, v101, 0xbf06c442, v43
	v_add_f32_e32 v64, v75, v64
	v_add_f32_e32 v65, v76, v65
	v_fma_f32 v77, 0xbf7ba420, v100, -v134
	v_mul_f32_e32 v140, 0xbf7ba420, v120
	v_mul_f32_e32 v86, 0x3f65296c, v117
	v_mul_f32_e32 v132, 0x3ee437d1, v122
	v_fma_f32 v83, 0xbe8c1d8e, v102, -v81
	v_fmamk_f32 v84, v103, 0x3f763a35, v82
	v_mul_f32_e32 v139, 0x3eb8f4ab, v117
	s_waitcnt lgkmcnt(3)
	v_sub_f32_e32 v118, v53, v70
	v_add_f32_e32 v66, v75, v66
	v_add_f32_e32 v67, v76, v67
	;; [unrolled: 1-line block ×3, first 2 shown]
	v_fmamk_f32 v78, v101, 0xbe3c28d5, v140
	v_fma_f32 v85, 0x3ee437d1, v102, -v86
	v_fmamk_f32 v87, v103, 0x3f65296c, v132
	v_add_f32_e32 v64, v83, v64
	v_add_f32_e32 v65, v84, v65
	v_mul_f32_e32 v148, 0x3f6eb680, v122
	v_fma_f32 v84, 0x3f6eb680, v102, -v139
	v_add_f32_e32 v104, v69, v52
	v_add_f32_e32 v124, v70, v53
	v_mul_f32_e32 v83, 0xbeb8f4ab, v118
	v_add_f32_e32 v78, v76, v78
	v_add_f32_e32 v66, v85, v66
	v_add_f32_e32 v67, v87, v67
	v_fmamk_f32 v87, v103, 0x3eb8f4ab, v148
	v_add_f32_e32 v77, v84, v77
	v_sub_f32_e32 v105, v52, v69
	v_mul_f32_e32 v85, 0x3f6eb680, v124
	v_fma_f32 v84, 0x3f6eb680, v104, -v83
	v_mul_f32_e32 v133, 0xbf7ee86f, v118
	v_mul_f32_e32 v138, 0x3dbcf732, v124
	v_add_f32_e32 v78, v87, v78
	v_fmamk_f32 v87, v105, 0xbeb8f4ab, v85
	v_add_f32_e32 v64, v84, v64
	v_mul_f32_e32 v146, 0xbf06c442, v118
	v_fma_f32 v84, 0x3dbcf732, v104, -v133
	v_fmamk_f32 v88, v105, 0xbf7ee86f, v138
	v_mul_f32_e32 v153, 0xbf59a7d5, v124
	v_sub_f32_e32 v119, v55, v72
	v_add_f32_e32 v65, v87, v65
	v_fma_f32 v87, 0xbf59a7d5, v104, -v146
	v_add_f32_e32 v66, v84, v66
	v_add_f32_e32 v67, v88, v67
	v_fmamk_f32 v88, v105, 0xbf06c442, v153
	v_add_f32_e32 v126, v72, v55
	v_add_f32_e32 v106, v71, v54
	v_mul_f32_e32 v84, 0xbf06c442, v119
	v_mul_f32_e32 v137, 0x3f4c4adb, v119
	v_add_f32_e32 v77, v87, v77
	v_add_f32_e32 v78, v88, v78
	v_sub_f32_e32 v107, v54, v71
	v_mul_f32_e32 v87, 0xbf59a7d5, v126
	v_fma_f32 v88, 0xbf59a7d5, v106, -v84
	v_mul_f32_e32 v143, 0xbf1a4643, v126
	v_mul_f32_e32 v151, 0x3f2c7751, v119
	v_fma_f32 v108, 0xbf1a4643, v106, -v137
	s_waitcnt lgkmcnt(2)
	v_sub_f32_e32 v121, v57, v74
	v_fmamk_f32 v92, v107, 0xbf06c442, v87
	v_add_f32_e32 v64, v88, v64
	v_fmamk_f32 v88, v107, 0x3f4c4adb, v143
	v_fma_f32 v109, 0x3f3d2fb0, v106, -v151
	v_add_f32_e32 v66, v108, v66
	v_mul_f32_e32 v157, 0x3f3d2fb0, v126
	v_add_f32_e32 v129, v74, v57
	v_add_f32_e32 v108, v73, v56
	v_mul_f32_e32 v144, 0xbeb8f4ab, v121
	v_add_f32_e32 v65, v92, v65
	v_add_f32_e32 v67, v88, v67
	;; [unrolled: 1-line block ×3, first 2 shown]
	v_fmamk_f32 v92, v107, 0x3f2c7751, v157
	v_sub_f32_e32 v109, v56, v73
	v_mul_f32_e32 v88, 0x3f7ee86f, v121
	v_mul_f32_e32 v136, 0x3dbcf732, v129
	v_fma_f32 v111, 0x3f6eb680, v108, -v144
	v_add_f32_e32 v128, v41, v59
	v_add_f32_e32 v78, v92, v78
	v_mul_f32_e32 v149, 0x3f6eb680, v129
	v_fma_f32 v92, 0x3dbcf732, v108, -v88
	v_fmamk_f32 v110, v109, 0x3f7ee86f, v136
	v_mul_f32_e32 v156, 0xbf4c4adb, v121
	v_add_f32_e32 v66, v111, v66
	v_sub_f32_e32 v123, v59, v41
	v_sub_f32_e32 v111, v58, v40
	v_mul_f32_e32 v142, 0x3f3d2fb0, v128
	v_fmamk_f32 v112, v109, 0xbeb8f4ab, v149
	v_add_f32_e32 v64, v92, v64
	v_add_f32_e32 v65, v110, v65
	v_fma_f32 v92, 0xbf1a4643, v108, -v156
	v_mul_f32_e32 v161, 0xbf1a4643, v129
	v_add_f32_e32 v110, v40, v58
	v_mul_f32_e32 v135, 0xbf2c7751, v123
	v_fmamk_f32 v113, v111, 0xbf2c7751, v142
	s_waitcnt lgkmcnt(0)
	v_add_f32_e32 v130, v47, v49
	v_add_f32_e32 v67, v112, v67
	;; [unrolled: 1-line block ×3, first 2 shown]
	v_mul_f32_e32 v150, 0xbe3c28d5, v123
	v_mul_f32_e32 v155, 0xbf7ba420, v128
	v_fmamk_f32 v92, v109, 0xbf4c4adb, v161
	v_fma_f32 v112, 0x3f3d2fb0, v110, -v135
	v_add_f32_e32 v65, v113, v65
	v_mul_f32_e32 v160, 0x3f65296c, v123
	v_sub_f32_e32 v125, v49, v47
	v_sub_f32_e32 v113, v48, v46
	v_mul_f32_e32 v145, 0xbf7ba420, v130
	v_fma_f32 v114, 0xbf7ba420, v110, -v150
	v_fmamk_f32 v115, v111, 0xbe3c28d5, v155
	v_add_f32_e32 v78, v92, v78
	v_add_f32_e32 v64, v112, v64
	v_mul_f32_e32 v164, 0x3ee437d1, v128
	v_add_f32_e32 v112, v46, v48
	v_mul_f32_e32 v141, 0xbe3c28d5, v125
	v_fma_f32 v92, 0x3ee437d1, v110, -v160
	v_mul_f32_e32 v154, 0x3f2c7751, v125
	v_fmamk_f32 v127, v113, 0xbe3c28d5, v145
	v_add_f32_e32 v66, v114, v66
	v_add_f32_e32 v67, v115, v67
	v_fmamk_f32 v114, v111, 0x3f65296c, v164
	v_fma_f32 v115, 0xbf7ba420, v112, -v141
	v_add_f32_e32 v77, v92, v77
	v_fma_f32 v92, 0x3f3d2fb0, v112, -v154
	v_add_f32_e32 v65, v127, v65
	v_mul_f32_e32 v159, 0x3f3d2fb0, v130
	v_sub_f32_e32 v127, v51, v45
	v_mul_f32_e32 v163, 0xbf763a35, v125
	v_mul_f32_e32 v166, 0xbe8c1d8e, v130
	v_add_f32_e32 v78, v114, v78
	v_add_f32_e32 v64, v115, v64
	;; [unrolled: 1-line block ×3, first 2 shown]
	v_fmamk_f32 v66, v113, 0x3f2c7751, v159
	v_add_f32_e32 v114, v44, v50
	v_mul_f32_e32 v147, 0x3f65296c, v127
	v_fma_f32 v115, 0xbe8c1d8e, v112, -v163
	v_fmamk_f32 v152, v113, 0xbf763a35, v166
	v_add_f32_e32 v131, v45, v51
	v_add_f32_e32 v168, v66, v67
	v_fma_f32 v66, 0x3ee437d1, v114, -v147
	v_add_f32_e32 v77, v115, v77
	v_add_f32_e32 v78, v152, v78
	v_sub_f32_e32 v115, v50, v44
	v_mul_f32_e32 v152, 0x3ee437d1, v131
	v_mul_f32_e32 v158, 0xbf763a35, v127
	;; [unrolled: 1-line block ×5, first 2 shown]
	v_add_f32_e32 v66, v66, v64
	v_fmamk_f32 v64, v115, 0x3f65296c, v152
	v_fma_f32 v169, 0xbe8c1d8e, v114, -v158
	v_fmamk_f32 v170, v115, 0xbf763a35, v162
	v_fma_f32 v171, 0x3dbcf732, v114, -v165
	v_fmamk_f32 v172, v115, 0x3f7ee86f, v167
	v_add_f32_e32 v67, v64, v65
	v_add_f32_e32 v64, v169, v92
	;; [unrolled: 1-line block ×5, first 2 shown]
	s_barrier
	buffer_gl0_inv
	s_and_saveexec_b32 s1, vcc_lo
	s_cbranch_execz .LBB0_17
; %bb.16:
	v_mul_f32_e32 v171, 0xbf7ba420, v100
	v_mul_f32_e32 v177, 0x3f6eb680, v102
	;; [unrolled: 1-line block ×5, first 2 shown]
	v_add_f32_e32 v134, v171, v134
	v_add_f32_e32 v139, v177, v139
	v_mul_f32_e32 v176, 0x3f65296c, v103
	v_mul_f32_e32 v189, 0x3f3d2fb0, v106
	v_sub_f32_e32 v43, v43, v170
	v_add_f32_e32 v134, v75, v134
	v_mul_f32_e32 v168, 0xbf4c4adb, v101
	v_mul_f32_e32 v178, 0x3eb8f4ab, v103
	v_mul_f32_e32 v182, 0xbf7ee86f, v105
	v_mul_f32_e32 v195, 0xbf1a4643, v108
	v_add_f32_e32 v134, v139, v134
	v_add_f32_e32 v139, v183, v146
	v_sub_f32_e32 v140, v140, v172
	v_add_f32_e32 v43, v76, v43
	v_sub_f32_e32 v132, v132, v176
	v_mul_f32_e32 v174, 0x3f763a35, v103
	v_add_f32_e32 v134, v139, v134
	v_add_f32_e32 v139, v189, v151
	v_mul_f32_e32 v184, 0xbf06c442, v105
	v_mul_f32_e32 v188, 0x3f4c4adb, v107
	;; [unrolled: 1-line block ×3, first 2 shown]
	v_add_f32_e32 v140, v76, v140
	v_sub_f32_e32 v148, v148, v178
	v_add_f32_e32 v134, v139, v134
	v_add_f32_e32 v139, v195, v156
	;; [unrolled: 1-line block ×3, first 2 shown]
	v_sub_f32_e32 v138, v138, v182
	v_sub_f32_e32 v80, v80, v168
	v_mul_f32_e32 v169, 0xbf59a7d5, v100
	v_mul_f32_e32 v180, 0xbeb8f4ab, v105
	;; [unrolled: 1-line block ×3, first 2 shown]
	v_add_f32_e32 v140, v148, v140
	v_sub_f32_e32 v148, v153, v184
	v_mul_f32_e32 v153, 0xbe8c1d8e, v112
	v_add_f32_e32 v134, v139, v134
	v_add_f32_e32 v139, v200, v160
	v_add_f32_e32 v132, v138, v132
	v_sub_f32_e32 v138, v143, v188
	v_add_f32_e32 v80, v76, v80
	v_sub_f32_e32 v82, v82, v174
	v_mul_f32_e32 v92, 0xbf1a4643, v100
	v_mul_f32_e32 v175, 0x3ee437d1, v102
	;; [unrolled: 1-line block ×6, first 2 shown]
	v_add_f32_e32 v42, v169, v42
	v_add_f32_e32 v134, v139, v134
	;; [unrolled: 1-line block ×4, first 2 shown]
	v_sub_f32_e32 v138, v149, v194
	v_add_f32_e32 v82, v82, v80
	v_sub_f32_e32 v85, v85, v180
	v_mul_f32_e32 v173, 0xbe8c1d8e, v102
	v_mul_f32_e32 v192, 0x3f7ee86f, v109
	;; [unrolled: 1-line block ×4, first 2 shown]
	v_add_f32_e32 v140, v148, v140
	v_sub_f32_e32 v148, v157, v190
	v_add_f32_e32 v42, v75, v42
	v_add_f32_e32 v86, v175, v86
	;; [unrolled: 1-line block ×5, first 2 shown]
	v_sub_f32_e32 v138, v155, v199
	v_add_f32_e32 v79, v92, v79
	v_add_f32_e32 v82, v85, v82
	v_sub_f32_e32 v85, v87, v186
	v_mul_f32_e32 v179, 0x3f6eb680, v104
	v_mul_f32_e32 v181, 0x3dbcf732, v104
	v_mul_f32_e32 v198, 0xbf2c7751, v111
	v_add_f32_e32 v140, v148, v140
	v_sub_f32_e32 v148, v161, v196
	v_mul_f32_e32 v161, 0xbf763a35, v115
	v_add_f32_e32 v86, v86, v42
	v_add_f32_e32 v42, v139, v134
	;; [unrolled: 1-line block ×3, first 2 shown]
	v_sub_f32_e32 v134, v159, v204
	v_add_f32_e32 v79, v75, v79
	v_add_f32_e32 v81, v173, v81
	;; [unrolled: 1-line block ×3, first 2 shown]
	v_sub_f32_e32 v85, v136, v192
	v_mul_f32_e32 v185, 0xbf59a7d5, v106
	v_mul_f32_e32 v187, 0xbf1a4643, v106
	;; [unrolled: 1-line block ×3, first 2 shown]
	v_add_f32_e32 v133, v181, v133
	v_add_f32_e32 v132, v134, v132
	v_sub_f32_e32 v134, v162, v161
	v_add_f32_e32 v81, v81, v79
	v_add_f32_e32 v83, v179, v83
	;; [unrolled: 1-line block ×3, first 2 shown]
	v_sub_f32_e32 v85, v142, v198
	v_mul_f32_e32 v92, 0xbe8c1d8e, v120
	v_mul_f32_e32 v191, 0x3dbcf732, v108
	;; [unrolled: 1-line block ×3, first 2 shown]
	v_add_f32_e32 v86, v133, v86
	v_add_f32_e32 v133, v187, v137
	;; [unrolled: 1-line block ×6, first 2 shown]
	v_sub_f32_e32 v84, v145, v202
	v_fmamk_f32 v85, v101, 0x3f763a35, v92
	v_mul_f32_e32 v134, 0xbf59a7d5, v122
	v_mul_f32_e32 v197, 0x3f3d2fb0, v110
	v_mul_f32_e32 v172, 0xbf7ba420, v110
	v_mul_f32_e32 v201, 0x3f65296c, v111
	v_add_f32_e32 v86, v133, v86
	v_add_f32_e32 v133, v193, v144
	;; [unrolled: 1-line block ×6, first 2 shown]
	v_fmamk_f32 v85, v103, 0xbf06c442, v134
	v_mul_f32_e32 v136, 0x3f3d2fb0, v124
	v_mul_f32_e32 v178, 0xbf7ba420, v112
	;; [unrolled: 1-line block ×4, first 2 shown]
	v_add_f32_e32 v140, v148, v140
	v_sub_f32_e32 v146, v164, v201
	v_add_f32_e32 v86, v133, v86
	v_add_f32_e32 v133, v172, v150
	;; [unrolled: 1-line block ×5, first 2 shown]
	v_fmamk_f32 v85, v105, 0xbf2c7751, v136
	v_mul_f32_e32 v135, 0x3ee437d1, v126
	v_mul_f32_e32 v205, 0x3ee437d1, v114
	;; [unrolled: 1-line block ×4, first 2 shown]
	v_add_f32_e32 v140, v146, v140
	v_sub_f32_e32 v146, v166, v184
	v_add_f32_e32 v86, v133, v86
	v_add_f32_e32 v87, v203, v154
	;; [unrolled: 1-line block ×5, first 2 shown]
	v_fmamk_f32 v85, v107, 0x3f65296c, v135
	v_mul_f32_e32 v137, 0xbf7ba420, v129
	v_mul_f32_e32 v157, 0x3f65296c, v115
	v_add_f32_e32 v140, v146, v140
	v_sub_f32_e32 v146, v167, v148
	v_add_f32_e32 v86, v87, v86
	v_add_f32_e32 v87, v171, v158
	;; [unrolled: 1-line block ×4, first 2 shown]
	v_mul_f32_e32 v138, 0xbf763a35, v116
	v_add_f32_e32 v84, v85, v84
	v_fmamk_f32 v85, v109, 0x3e3c28d5, v137
	v_mul_f32_e32 v139, 0x3dbcf732, v128
	v_add_f32_e32 v43, v146, v140
	v_add_f32_e32 v79, v87, v86
	v_sub_f32_e32 v86, v152, v157
	v_add_f32_e32 v81, v83, v81
	v_fmamk_f32 v83, v100, 0xbe8c1d8e, v138
	v_mul_f32_e32 v140, 0x3f06c442, v117
	v_add_f32_e32 v84, v85, v84
	v_fmamk_f32 v85, v111, 0xbf7ee86f, v139
	v_mul_f32_e32 v141, 0x3f6eb680, v130
	v_add_f32_e32 v82, v86, v82
	v_add_f32_e32 v83, v75, v83
	v_fmamk_f32 v86, v102, 0xbf59a7d5, v140
	v_mul_f32_e32 v142, 0x3f2c7751, v118
	v_add_f32_e32 v84, v85, v84
	v_fmamk_f32 v85, v113, 0x3eb8f4ab, v141
	v_mul_f32_e32 v143, 0xbf1a4643, v131
	;; [unrolled: 3-line block ×52, first 2 shown]
	v_add_f32_e32 v191, v191, v133
	v_mul_f32_e32 v124, 0x3ee437d1, v124
	v_add_f32_e32 v61, v61, v76
	v_add_f32_e32 v133, v181, v132
	v_fmamk_f32 v132, v101, 0x3eb8f4ab, v120
	v_fmamk_f32 v197, v103, 0x3f2c7751, v122
	v_mul_f32_e32 v126, 0x3dbcf732, v126
	v_add_f32_e32 v61, v63, v61
	v_add_f32_e32 v60, v60, v75
	;; [unrolled: 1-line block ×3, first 2 shown]
	v_mul_f32_e32 v129, 0xbe8c1d8e, v129
	v_mul_f32_e32 v63, 0xbf1a4643, v128
	v_add_f32_e32 v53, v53, v61
	v_add_f32_e32 v60, v62, v60
	;; [unrolled: 1-line block ×3, first 2 shown]
	v_fmamk_f32 v197, v105, 0x3f65296c, v124
	v_fmamk_f32 v200, v109, 0x3f763a35, v129
	v_add_f32_e32 v53, v55, v53
	v_add_f32_e32 v52, v52, v60
	v_fmamk_f32 v61, v111, 0x3f4c4adb, v63
	v_add_f32_e32 v132, v197, v132
	v_fmamk_f32 v197, v107, 0x3f7ee86f, v126
	v_mul_f32_e32 v116, 0xbeb8f4ab, v116
	v_add_f32_e32 v53, v57, v53
	v_add_f32_e32 v52, v54, v52
	v_mul_f32_e32 v62, 0xbf59a7d5, v130
	v_add_f32_e32 v197, v197, v132
	v_mul_f32_e32 v54, 0xbf2c7751, v117
	v_add_f32_e32 v53, v59, v53
	v_add_f32_e32 v52, v56, v52
	v_fmamk_f32 v60, v113, 0x3f06c442, v62
	v_add_f32_e32 v128, v200, v197
	v_fmamk_f32 v56, v102, 0x3f3d2fb0, v54
	v_mul_f32_e32 v59, 0xbf65296c, v118
	v_add_f32_e32 v49, v49, v53
	v_add_f32_e32 v52, v58, v52
	;; [unrolled: 1-line block ×3, first 2 shown]
	v_fmamk_f32 v61, v100, 0x3f6eb680, v116
	v_fmac_f32_e32 v92, 0xbf763a35, v101
	v_add_f32_e32 v49, v51, v49
	v_add_f32_e32 v48, v48, v52
	;; [unrolled: 1-line block ×4, first 2 shown]
	v_mul_f32_e32 v60, 0xbf7ba420, v131
	v_add_f32_e32 v49, v45, v49
	v_add_f32_e32 v48, v50, v48
	v_mul_f32_e32 v50, 0xbf763a35, v121
	v_add_f32_e32 v53, v56, v57
	v_fmamk_f32 v56, v104, 0x3ee437d1, v59
	v_mul_f32_e32 v57, 0xbf7ee86f, v119
	v_fmamk_f32 v51, v115, 0x3e3c28d5, v60
	v_add_f32_e32 v47, v47, v49
	v_add_f32_e32 v44, v44, v48
	;; [unrolled: 1-line block ×3, first 2 shown]
	v_fmamk_f32 v53, v106, 0x3dbcf732, v57
	v_add_f32_e32 v45, v51, v55
	v_fmamk_f32 v48, v108, 0xbe8c1d8e, v50
	v_mul_f32_e32 v49, 0xbf4c4adb, v123
	v_add_f32_e32 v41, v41, v47
	v_add_f32_e32 v51, v53, v52
	;; [unrolled: 1-line block ×4, first 2 shown]
	v_fmac_f32_e32 v134, 0x3f06c442, v103
	v_add_f32_e32 v41, v74, v41
	v_add_f32_e32 v47, v48, v51
	v_fmamk_f32 v48, v110, 0xbf1a4643, v49
	v_add_f32_e32 v40, v40, v44
	v_add_f32_e32 v44, v134, v46
	v_fmac_f32_e32 v136, 0x3f2c7751, v105
	v_add_f32_e32 v41, v72, v41
	v_add_f32_e32 v46, v48, v47
	v_mul_f32_e32 v48, 0xbf06c442, v125
	v_add_f32_e32 v40, v73, v40
	v_add_f32_e32 v44, v136, v44
	v_fmac_f32_e32 v135, 0xbf65296c, v107
	v_mul_f32_e32 v51, 0xbe3c28d5, v127
	v_fmamk_f32 v47, v112, 0xbf59a7d5, v48
	v_add_f32_e32 v41, v70, v41
	v_add_f32_e32 v40, v71, v40
	;; [unrolled: 1-line block ×3, first 2 shown]
	v_fmac_f32_e32 v137, 0xbe3c28d5, v109
	v_add_f32_e32 v46, v47, v46
	v_fmamk_f32 v47, v114, 0xbf7ba420, v51
	v_add_f32_e32 v1, v1, v41
	v_add_f32_e32 v40, v69, v40
	;; [unrolled: 1-line block ×3, first 2 shown]
	v_fmac_f32_e32 v139, 0x3f7ee86f, v111
	v_add_f32_e32 v44, v47, v46
	v_fma_f32 v46, 0xbe8c1d8e, v100, -v138
	v_add_f32_e32 v1, v3, v1
	v_add_f32_e32 v0, v0, v40
	;; [unrolled: 1-line block ×3, first 2 shown]
	v_fmac_f32_e32 v141, 0xbeb8f4ab, v113
	v_add_f32_e32 v40, v75, v46
	v_fma_f32 v41, 0xbf59a7d5, v102, -v140
	v_fmac_f32_e32 v145, 0xbf7ee86f, v101
	v_add_f32_e32 v0, v2, v0
	v_add_f32_e32 v2, v141, v3
	v_fmac_f32_e32 v143, 0xbf4c4adb, v115
	v_add_f32_e32 v40, v41, v40
	v_fma_f32 v41, 0x3f3d2fb0, v104, -v142
	v_add_f32_e32 v46, v76, v145
	v_fmac_f32_e32 v147, 0xbe3c28d5, v103
	v_add_f32_e32 v3, v143, v2
	v_fma_f32 v2, 0x3dbcf732, v100, -v154
	v_add_f32_e32 v40, v41, v40
	v_fma_f32 v41, 0x3ee437d1, v106, -v144
	v_add_f32_e32 v46, v147, v46
	v_fmac_f32_e32 v149, 0x3f763a35, v105
	v_add_f32_e32 v2, v75, v2
	v_fma_f32 v47, 0xbf7ba420, v102, -v156
	;; [unrolled: 6-line block ×6, first 2 shown]
	v_add_f32_e32 v2, v41, v40
	v_fmac_f32_e32 v161, 0xbf65296c, v101
	v_add_f32_e32 v40, v157, v46
	v_fmac_f32_e32 v159, 0x3f2c7751, v115
	v_add_f32_e32 v46, v52, v47
	v_fma_f32 v47, 0xbf1a4643, v112, -v166
	v_add_f32_e32 v52, v76, v161
	v_fmac_f32_e32 v163, 0xbf4c4adb, v103
	v_add_f32_e32 v41, v159, v40
	v_fma_f32 v40, 0x3ee437d1, v100, -v170
	v_add_f32_e32 v46, v47, v46
	v_fma_f32 v47, 0x3f3d2fb0, v114, -v168
	v_add_f32_e32 v52, v163, v52
	v_fmac_f32_e32 v165, 0x3e3c28d5, v105
	v_add_f32_e32 v53, v75, v40
	v_fma_f32 v55, 0xbf1a4643, v102, -v172
	v_fmac_f32_e32 v177, 0xbf2c7751, v101
	v_add_f32_e32 v40, v47, v46
	v_add_f32_e32 v46, v165, v52
	v_fmac_f32_e32 v167, 0x3f763a35, v107
	v_add_f32_e32 v47, v55, v53
	v_fma_f32 v52, 0xbf7ba420, v104, -v174
	v_add_f32_e32 v53, v76, v177
	v_fmac_f32_e32 v179, 0xbf7ee86f, v103
	v_add_f32_e32 v46, v167, v46
	v_fmac_f32_e32 v169, 0x3f2c7751, v109
	v_add_f32_e32 v47, v52, v47
	v_fma_f32 v52, 0xbe8c1d8e, v106, -v176
	v_add_f32_e32 v53, v179, v53
	v_fmac_f32_e32 v182, 0xbf4c4adb, v105
	;; [unrolled: 6-line block ×5, first 2 shown]
	v_add_f32_e32 v47, v175, v46
	v_fma_f32 v46, 0x3f3d2fb0, v100, -v187
	v_add_f32_e32 v52, v55, v52
	v_fma_f32 v55, 0xbf59a7d5, v114, -v185
	v_add_f32_e32 v53, v188, v53
	v_fmac_f32_e32 v190, 0x3f65296c, v113
	v_add_f32_e32 v56, v75, v46
	v_fma_f32 v58, 0x3dbcf732, v102, -v189
	v_add_f32_e32 v46, v55, v52
	v_fmac_f32_e32 v120, 0xbeb8f4ab, v101
	v_add_f32_e32 v52, v190, v53
	v_fma_f32 v53, 0x3f6eb680, v100, -v116
	v_mul_f32_e32 v194, 0xbe3c28d5, v119
	v_add_f32_e32 v55, v58, v56
	v_fma_f32 v56, 0xbf1a4643, v104, -v192
	v_add_f32_e32 v58, v76, v120
	v_fmac_f32_e32 v122, 0xbf2c7751, v103
	v_add_f32_e32 v53, v75, v53
	v_fma_f32 v54, 0x3f3d2fb0, v102, -v54
	v_fmamk_f32 v195, v106, 0xbf7ba420, v194
	v_mul_f32_e32 v196, 0x3f06c442, v121
	v_add_f32_e32 v55, v56, v55
	v_fma_f32 v56, 0xbf7ba420, v106, -v194
	v_add_f32_e32 v58, v122, v58
	v_fmac_f32_e32 v124, 0xbf65296c, v105
	v_add_f32_e32 v53, v54, v53
	v_fma_f32 v54, 0x3ee437d1, v104, -v59
	v_add_f32_e32 v181, v195, v191
	v_mul_f32_e32 v195, 0x3f763a35, v123
	v_add_f32_e32 v55, v56, v55
	v_fma_f32 v56, 0xbf59a7d5, v108, -v196
	v_add_f32_e32 v58, v124, v58
	v_fmac_f32_e32 v126, 0xbf7ee86f, v107
	v_add_f32_e32 v53, v54, v53
	v_fma_f32 v54, 0x3dbcf732, v106, -v57
	v_fmamk_f32 v191, v108, 0xbf59a7d5, v196
	v_mul_f32_e32 v198, 0x3f65296c, v125
	v_add_f32_e32 v55, v56, v55
	v_fma_f32 v56, 0xbe8c1d8e, v110, -v195
	v_add_f32_e32 v57, v126, v58
	v_fmac_f32_e32 v129, 0xbf763a35, v109
	v_add_f32_e32 v53, v54, v53
	v_fma_f32 v50, 0xbe8c1d8e, v108, -v50
	v_add_f32_e32 v181, v191, v181
	v_fmamk_f32 v191, v110, 0xbe8c1d8e, v195
	v_add_f32_e32 v54, v56, v55
	v_fma_f32 v55, 0x3ee437d1, v112, -v198
	v_add_f32_e32 v56, v129, v57
	v_fmac_f32_e32 v63, 0xbf4c4adb, v111
	v_add_f32_e32 v50, v50, v53
	v_fma_f32 v49, 0xbf1a4643, v110, -v49
	v_add_f32_e32 v181, v191, v181
	v_fmamk_f32 v191, v112, 0x3ee437d1, v198
	v_mul_f32_e32 v199, 0x3eb8f4ab, v127
	v_add_f32_e32 v53, v55, v54
	v_add_f32_e32 v54, v63, v56
	v_fmac_f32_e32 v62, 0xbf06c442, v113
	v_add_f32_e32 v49, v49, v50
	v_fma_f32 v48, 0xbf59a7d5, v112, -v48
	v_and_b32_e32 v55, 0xffff, v206
	v_add_f32_e32 v181, v191, v181
	v_fmamk_f32 v191, v114, 0x3f6eb680, v199
	v_fmac_f32_e32 v193, 0x3eb8f4ab, v115
	v_fma_f32 v50, 0x3f6eb680, v114, -v199
	v_add_f32_e32 v54, v62, v54
	v_fmac_f32_e32 v60, 0xbe3c28d5, v115
	v_add_f32_e32 v56, v48, v49
	v_fma_f32 v57, 0xbf7ba420, v114, -v51
	v_lshl_add_u32 v55, v55, 3, v91
	v_add_f32_e32 v132, v191, v181
	v_add_f32_e32 v49, v193, v52
	;; [unrolled: 1-line block ×5, first 2 shown]
	ds_write2_b64 v55, v[0:1], v[44:45] offset1:1
	ds_write2_b64 v55, v[132:133], v[87:88] offset0:2 offset1:3
	ds_write2_b64 v55, v[85:86], v[83:84] offset0:4 offset1:5
	;; [unrolled: 1-line block ×7, first 2 shown]
	ds_write_b64 v55, v[50:51] offset:128
.LBB0_17:
	s_or_b32 exec_lo, exec_lo, s1
	v_add_nc_u32_e32 v44, 0x800, v94
	v_add_nc_u32_e32 v45, 0x400, v94
	s_waitcnt lgkmcnt(0)
	s_barrier
	buffer_gl0_inv
	ds_read2_b64 v[40:43], v94 offset1:51
	ds_read2_b64 v[0:3], v94 offset0:102 offset1:187
	ds_read2_b64 v[48:51], v44 offset0:118 offset1:169
	;; [unrolled: 1-line block ×3, first 2 shown]
	ds_read_b64 v[52:53], v94 offset:3808
	s_and_saveexec_b32 s1, s0
	s_cbranch_execz .LBB0_19
; %bb.18:
	v_add_nc_u32_e32 v54, 0xa00, v94
	ds_read_b64 v[77:78], v94 offset:1224
	ds_read2_b64 v[64:67], v54 offset0:20 offset1:207
.LBB0_19:
	s_or_b32 exec_lo, exec_lo, s1
	s_waitcnt lgkmcnt(3)
	v_mul_f32_e32 v54, v25, v3
	v_mul_f32_e32 v25, v25, v2
	s_waitcnt lgkmcnt(2)
	v_mul_f32_e32 v55, v27, v49
	v_mul_f32_e32 v27, v27, v48
	s_waitcnt lgkmcnt(0)
	v_fmac_f32_e32 v54, v24, v2
	v_mul_f32_e32 v2, v21, v44
	v_fma_f32 v3, v24, v3, -v25
	v_mul_f32_e32 v24, v21, v45
	v_fmac_f32_e32 v55, v26, v48
	v_fma_f32 v21, v26, v49, -v27
	v_fma_f32 v26, v20, v45, -v2
	v_mul_f32_e32 v27, v9, v47
	v_mul_f32_e32 v2, v9, v46
	;; [unrolled: 1-line block ×5, first 2 shown]
	v_fmac_f32_e32 v27, v8, v46
	v_fma_f32 v45, v8, v47, -v2
	v_add_f32_e32 v2, v54, v55
	v_fma_f32 v46, v10, v53, -v9
	v_add_f32_e32 v9, v3, v21
	v_fmac_f32_e32 v24, v20, v44
	v_fmac_f32_e32 v25, v22, v50
	v_fma_f32 v23, v22, v51, -v23
	v_mul_f32_e32 v44, v11, v53
	v_fma_f32 v2, -0.5, v2, v40
	v_sub_f32_e32 v11, v3, v21
	v_add_f32_e32 v20, v41, v3
	v_fma_f32 v3, -0.5, v9, v41
	v_sub_f32_e32 v22, v54, v55
	v_fmac_f32_e32 v44, v10, v52
	v_fmamk_f32 v10, v11, 0xbf5db3d7, v2
	v_fmac_f32_e32 v2, 0x3f5db3d7, v11
	v_add_f32_e32 v9, v20, v21
	v_add_f32_e32 v20, v24, v25
	v_fmamk_f32 v11, v22, 0x3f5db3d7, v3
	v_add_f32_e32 v21, v42, v24
	v_fmac_f32_e32 v3, 0xbf5db3d7, v22
	v_add_f32_e32 v22, v26, v23
	v_fma_f32 v42, -0.5, v20, v42
	v_sub_f32_e32 v24, v24, v25
	v_add_f32_e32 v20, v21, v25
	v_add_f32_e32 v21, v43, v26
	v_fmac_f32_e32 v43, -0.5, v22
	v_add_f32_e32 v8, v40, v54
	v_sub_f32_e32 v40, v26, v23
	v_add_f32_e32 v25, v27, v44
	v_add_f32_e32 v21, v21, v23
	v_fmamk_f32 v23, v24, 0x3f5db3d7, v43
	v_fmac_f32_e32 v43, 0xbf5db3d7, v24
	v_add_f32_e32 v24, v45, v46
	v_fmamk_f32 v22, v40, 0xbf5db3d7, v42
	v_fmac_f32_e32 v42, 0x3f5db3d7, v40
	v_add_f32_e32 v26, v0, v27
	v_fma_f32 v0, -0.5, v25, v0
	v_sub_f32_e32 v25, v45, v46
	v_add_f32_e32 v40, v1, v45
	v_fmac_f32_e32 v1, -0.5, v24
	v_sub_f32_e32 v41, v27, v44
	v_add_f32_e32 v8, v8, v55
	v_add_f32_e32 v24, v26, v44
	v_fmamk_f32 v26, v25, 0xbf5db3d7, v0
	v_fmac_f32_e32 v0, 0x3f5db3d7, v25
	v_add_f32_e32 v25, v40, v46
	v_fmamk_f32 v27, v41, 0x3f5db3d7, v1
	v_fmac_f32_e32 v1, 0xbf5db3d7, v41
	s_barrier
	buffer_gl0_inv
	ds_write2_b64 v99, v[8:9], v[10:11] offset1:17
	ds_write_b64 v99, v[2:3] offset:272
	ds_write2_b64 v98, v[20:21], v[22:23] offset1:17
	ds_write_b64 v98, v[42:43] offset:272
	;; [unrolled: 2-line block ×3, first 2 shown]
	s_and_saveexec_b32 s1, s0
	s_cbranch_execz .LBB0_21
; %bb.20:
	v_mul_f32_e32 v0, v5, v64
	v_mul_f32_e32 v1, v7, v66
	;; [unrolled: 1-line block ×4, first 2 shown]
	v_fma_f32 v0, v4, v65, -v0
	v_fma_f32 v5, v6, v67, -v1
	v_fmac_f32_e32 v2, v4, v64
	v_mov_b32_e32 v1, 51
	v_fmac_f32_e32 v7, v6, v66
	v_add_f32_e32 v9, v78, v0
	v_add_f32_e32 v3, v0, v5
	v_sub_f32_e32 v10, v0, v5
	v_mul_u32_u24_sdwa v4, v95, v1 dst_sel:DWORD dst_unused:UNUSED_PAD src0_sel:WORD_0 src1_sel:DWORD
	v_add_f32_e32 v8, v2, v7
	v_sub_f32_e32 v6, v2, v7
	v_fma_f32 v1, -0.5, v3, v78
	v_add_f32_e32 v11, v77, v2
	v_add_f32_e32 v5, v9, v5
	v_fma_f32 v0, -0.5, v8, v77
	v_add_nc_u32_sdwa v8, v4, v96 dst_sel:DWORD dst_unused:UNUSED_PAD src0_sel:DWORD src1_sel:BYTE_0
	v_fmamk_f32 v3, v6, 0xbf5db3d7, v1
	v_fmac_f32_e32 v1, 0x3f5db3d7, v6
	v_add_f32_e32 v4, v11, v7
	v_fmamk_f32 v2, v10, 0x3f5db3d7, v0
	v_fmac_f32_e32 v0, 0xbf5db3d7, v10
	v_lshl_add_u32 v6, v8, 3, v91
	ds_write2_b64 v6, v[4:5], v[0:1] offset1:17
	ds_write_b64 v6, v[2:3] offset:272
.LBB0_21:
	s_or_b32 exec_lo, exec_lo, s1
	s_waitcnt lgkmcnt(0)
	s_barrier
	buffer_gl0_inv
	ds_read2_b64 v[0:3], v94 offset1:51
	ds_read_b64 v[40:41], v94 offset:816
	ds_read2_b64 v[4:7], v94 offset0:153 offset1:204
	v_add_nc_u32_e32 v8, 0x400, v94
	v_add_nc_u32_e32 v24, 0x800, v94
	ds_read2_b64 v[8:11], v8 offset0:127 offset1:178
	ds_read2_b64 v[20:23], v24 offset0:101 offset1:152
	;; [unrolled: 1-line block ×3, first 2 shown]
	s_waitcnt lgkmcnt(5)
	v_mul_f32_e32 v42, v37, v3
	v_mul_f32_e32 v37, v37, v2
	s_waitcnt lgkmcnt(3)
	v_mul_f32_e32 v44, v33, v5
	v_mul_f32_e32 v33, v33, v4
	;; [unrolled: 1-line block ×6, first 2 shown]
	v_fmac_f32_e32 v42, v36, v2
	v_fma_f32 v2, v36, v3, -v37
	v_fmac_f32_e32 v44, v32, v4
	v_fma_f32 v4, v32, v5, -v33
	s_waitcnt lgkmcnt(2)
	v_mul_f32_e32 v5, v17, v9
	v_fmac_f32_e32 v43, v38, v40
	v_fma_f32 v36, v38, v41, -v39
	v_fmac_f32_e32 v45, v34, v6
	v_fma_f32 v6, v34, v7, -v35
	v_mul_f32_e32 v3, v17, v8
	v_mul_f32_e32 v7, v19, v11
	v_fmac_f32_e32 v5, v16, v8
	v_add_f32_e32 v8, v0, v42
	v_add_f32_e32 v17, v1, v2
	v_fma_f32 v9, v16, v9, -v3
	v_fmac_f32_e32 v7, v18, v10
	v_mul_f32_e32 v3, v19, v10
	v_add_f32_e32 v8, v8, v43
	v_add_f32_e32 v10, v17, v36
	s_waitcnt lgkmcnt(1)
	v_mul_f32_e32 v16, v13, v21
	v_mul_f32_e32 v13, v13, v20
	v_fma_f32 v11, v18, v11, -v3
	v_add_f32_e32 v3, v8, v44
	v_add_f32_e32 v8, v10, v4
	v_fmac_f32_e32 v16, v12, v20
	v_fma_f32 v10, v12, v21, -v13
	v_mul_f32_e32 v12, v15, v23
	v_add_f32_e32 v3, v3, v45
	v_add_f32_e32 v8, v8, v6
	v_mul_f32_e32 v13, v15, v22
	s_waitcnt lgkmcnt(0)
	v_mul_f32_e32 v15, v29, v25
	v_fmac_f32_e32 v12, v14, v22
	v_add_f32_e32 v3, v3, v5
	v_add_f32_e32 v8, v8, v9
	v_fma_f32 v13, v14, v23, -v13
	v_mul_f32_e32 v14, v31, v26
	v_mul_f32_e32 v18, v29, v24
	v_add_f32_e32 v3, v3, v7
	v_add_f32_e32 v8, v8, v11
	v_fmac_f32_e32 v15, v28, v24
	v_mul_f32_e32 v17, v31, v27
	v_fma_f32 v14, v30, v27, -v14
	v_add_f32_e32 v3, v3, v16
	v_add_f32_e32 v8, v8, v10
	v_fma_f32 v18, v28, v25, -v18
	v_fmac_f32_e32 v17, v30, v26
	v_sub_f32_e32 v19, v2, v14
	v_add_f32_e32 v3, v3, v12
	v_add_f32_e32 v8, v8, v13
	;; [unrolled: 1-line block ×4, first 2 shown]
	v_mul_f32_e32 v22, 0xbf0a6770, v19
	v_add_f32_e32 v2, v3, v15
	v_add_f32_e32 v3, v8, v18
	v_sub_f32_e32 v8, v42, v17
	v_mul_f32_e32 v23, 0x3f575c64, v21
	v_mul_f32_e32 v26, 0x3ed4b147, v21
	;; [unrolled: 1-line block ×3, first 2 shown]
	v_add_f32_e32 v3, v3, v14
	v_mul_f32_e32 v14, 0xbf68dda4, v19
	v_mul_f32_e32 v29, 0xbe11bafb, v21
	;; [unrolled: 1-line block ×6, first 2 shown]
	v_sub_f32_e32 v38, v36, v18
	v_add_f32_e32 v18, v36, v18
	v_fmamk_f32 v24, v20, 0x3f575c64, v22
	v_add_f32_e32 v2, v2, v17
	v_fmamk_f32 v17, v8, 0x3f0a6770, v23
	v_fma_f32 v22, 0x3f575c64, v20, -v22
	v_fmac_f32_e32 v23, 0xbf0a6770, v8
	v_fmamk_f32 v25, v20, 0x3ed4b147, v14
	v_fmamk_f32 v28, v8, 0x3f68dda4, v26
	v_fma_f32 v14, 0x3ed4b147, v20, -v14
	v_fmac_f32_e32 v26, 0xbf68dda4, v8
	v_fmamk_f32 v30, v20, 0xbe11bafb, v27
	;; [unrolled: 4-line block ×4, first 2 shown]
	v_fmamk_f32 v39, v8, 0x3e903f40, v21
	v_fma_f32 v19, 0xbf75a155, v20, -v19
	v_add_f32_e32 v20, v43, v15
	v_mul_f32_e32 v36, 0xbf68dda4, v38
	v_fmac_f32_e32 v21, 0xbe903f40, v8
	v_sub_f32_e32 v8, v43, v15
	v_mul_f32_e32 v15, 0x3ed4b147, v18
	v_add_f32_e32 v24, v0, v24
	v_add_f32_e32 v17, v1, v17
	;; [unrolled: 1-line block ×18, first 2 shown]
	v_fmamk_f32 v40, v20, 0x3ed4b147, v36
	v_add_f32_e32 v0, v0, v19
	v_add_f32_e32 v1, v1, v21
	v_fmamk_f32 v19, v8, 0x3f68dda4, v15
	v_mul_f32_e32 v21, 0xbf4178ce, v38
	v_fmac_f32_e32 v15, 0xbf68dda4, v8
	v_add_f32_e32 v24, v40, v24
	v_fma_f32 v36, 0x3ed4b147, v20, -v36
	v_add_f32_e32 v17, v19, v17
	v_fmamk_f32 v19, v20, 0xbf27a4f4, v21
	v_mul_f32_e32 v40, 0xbf27a4f4, v18
	v_add_f32_e32 v15, v15, v23
	v_mul_f32_e32 v23, 0x3e903f40, v38
	v_add_f32_e32 v22, v36, v22
	v_add_f32_e32 v19, v19, v25
	v_fmamk_f32 v25, v8, 0x3f4178ce, v40
	v_fma_f32 v21, 0xbf27a4f4, v20, -v21
	v_fmac_f32_e32 v40, 0xbf4178ce, v8
	v_fmamk_f32 v36, v20, 0xbf75a155, v23
	v_mul_f32_e32 v41, 0xbf75a155, v18
	v_add_f32_e32 v25, v25, v28
	v_add_f32_e32 v14, v21, v14
	;; [unrolled: 1-line block ×4, first 2 shown]
	v_fmamk_f32 v28, v8, 0xbe903f40, v41
	v_mul_f32_e32 v30, 0x3f7d64f0, v38
	v_fma_f32 v23, 0xbf75a155, v20, -v23
	v_mul_f32_e32 v36, 0xbe11bafb, v18
	v_mul_f32_e32 v38, 0x3f0a6770, v38
	v_add_f32_e32 v28, v28, v31
	v_fmamk_f32 v31, v20, 0xbe11bafb, v30
	v_fma_f32 v30, 0xbe11bafb, v20, -v30
	v_add_f32_e32 v23, v23, v27
	v_fmamk_f32 v27, v8, 0xbf7d64f0, v36
	v_fmac_f32_e32 v36, 0x3f7d64f0, v8
	v_add_f32_e32 v31, v31, v34
	v_fmamk_f32 v34, v20, 0x3f575c64, v38
	v_add_f32_e32 v30, v30, v32
	v_sub_f32_e32 v32, v4, v13
	v_mul_f32_e32 v18, 0x3f575c64, v18
	v_add_f32_e32 v33, v36, v33
	v_add_f32_e32 v34, v34, v37
	;; [unrolled: 1-line block ×3, first 2 shown]
	v_mul_f32_e32 v37, 0xbf7d64f0, v32
	v_add_f32_e32 v4, v4, v13
	v_fmac_f32_e32 v41, 0x3e903f40, v8
	v_add_f32_e32 v27, v27, v35
	v_fmamk_f32 v35, v8, 0xbf0a6770, v18
	v_fma_f32 v13, 0x3f575c64, v20, -v38
	v_fmac_f32_e32 v18, 0x3f0a6770, v8
	v_sub_f32_e32 v8, v44, v12
	v_fmamk_f32 v12, v36, 0xbe11bafb, v37
	v_mul_f32_e32 v20, 0xbe11bafb, v4
	v_add_f32_e32 v0, v13, v0
	v_add_f32_e32 v1, v18, v1
	v_mul_f32_e32 v18, 0x3e903f40, v32
	v_add_f32_e32 v12, v12, v24
	v_fmamk_f32 v13, v8, 0x3f7d64f0, v20
	v_fma_f32 v24, 0xbe11bafb, v36, -v37
	v_fmac_f32_e32 v20, 0xbf7d64f0, v8
	v_mul_f32_e32 v37, 0xbf75a155, v4
	v_add_f32_e32 v29, v41, v29
	v_add_f32_e32 v13, v13, v17
	v_fmamk_f32 v17, v36, 0xbf75a155, v18
	v_add_f32_e32 v22, v24, v22
	v_add_f32_e32 v15, v20, v15
	v_fmamk_f32 v20, v8, 0xbe903f40, v37
	v_mul_f32_e32 v24, 0x3f68dda4, v32
	v_add_f32_e32 v17, v17, v19
	v_fma_f32 v18, 0xbf75a155, v36, -v18
	v_fmac_f32_e32 v37, 0x3e903f40, v8
	v_add_f32_e32 v19, v20, v25
	v_fmamk_f32 v20, v36, 0x3ed4b147, v24
	v_mul_f32_e32 v25, 0x3ed4b147, v4
	v_add_f32_e32 v14, v18, v14
	v_add_f32_e32 v18, v37, v21
	v_mul_f32_e32 v21, 0xbf0a6770, v32
	v_add_f32_e32 v20, v20, v26
	v_fmamk_f32 v26, v8, 0xbf68dda4, v25
	v_fma_f32 v24, 0x3ed4b147, v36, -v24
	v_fmac_f32_e32 v25, 0x3f68dda4, v8
	v_mul_f32_e32 v38, 0x3f575c64, v4
	v_fmamk_f32 v37, v36, 0x3f575c64, v21
	v_add_f32_e32 v26, v26, v28
	v_add_f32_e32 v23, v24, v23
	;; [unrolled: 1-line block ×3, first 2 shown]
	v_fmamk_f32 v28, v8, 0x3f0a6770, v38
	v_mul_f32_e32 v29, 0xbf4178ce, v32
	v_mul_f32_e32 v4, 0xbf27a4f4, v4
	v_fma_f32 v21, 0x3f575c64, v36, -v21
	v_fmac_f32_e32 v38, 0xbf0a6770, v8
	v_sub_f32_e32 v32, v6, v10
	v_add_f32_e32 v6, v6, v10
	v_add_f32_e32 v25, v37, v31
	;; [unrolled: 1-line block ×3, first 2 shown]
	v_fmamk_f32 v28, v36, 0xbf27a4f4, v29
	v_fmamk_f32 v31, v8, 0x3f4178ce, v4
	v_add_f32_e32 v21, v21, v30
	v_add_f32_e32 v30, v38, v33
	;; [unrolled: 1-line block ×3, first 2 shown]
	v_mul_f32_e32 v10, 0xbf4178ce, v32
	v_fma_f32 v29, 0xbf27a4f4, v36, -v29
	v_fmac_f32_e32 v4, 0xbf4178ce, v8
	v_sub_f32_e32 v8, v45, v16
	v_mul_f32_e32 v16, 0xbf27a4f4, v6
	v_add_f32_e32 v28, v28, v34
	v_fmamk_f32 v34, v33, 0xbf27a4f4, v10
	v_add_f32_e32 v0, v29, v0
	v_add_f32_e32 v1, v4, v1
	v_mul_f32_e32 v4, 0x3f7d64f0, v32
	v_fmamk_f32 v29, v8, 0x3f4178ce, v16
	v_add_f32_e32 v12, v34, v12
	v_fma_f32 v10, 0xbf27a4f4, v33, -v10
	v_fmac_f32_e32 v16, 0xbf4178ce, v8
	v_fmamk_f32 v34, v33, 0xbe11bafb, v4
	v_add_f32_e32 v13, v29, v13
	v_mul_f32_e32 v29, 0xbe11bafb, v6
	v_add_f32_e32 v35, v35, v39
	v_add_f32_e32 v10, v10, v22
	;; [unrolled: 1-line block ×4, first 2 shown]
	v_mul_f32_e32 v17, 0xbf0a6770, v32
	v_fmamk_f32 v22, v8, 0xbf7d64f0, v29
	v_fma_f32 v4, 0xbe11bafb, v33, -v4
	v_mul_f32_e32 v34, 0x3f575c64, v6
	v_add_f32_e32 v31, v31, v35
	v_fmac_f32_e32 v29, 0x3f7d64f0, v8
	v_fmamk_f32 v35, v33, 0x3f575c64, v17
	v_add_f32_e32 v19, v22, v19
	v_add_f32_e32 v14, v4, v14
	v_fmamk_f32 v4, v8, 0x3f0a6770, v34
	v_mul_f32_e32 v22, 0xbe903f40, v32
	v_fma_f32 v17, 0x3f575c64, v33, -v17
	v_fmac_f32_e32 v34, 0xbf0a6770, v8
	v_add_f32_e32 v18, v29, v18
	v_add_f32_e32 v26, v4, v26
	v_fmamk_f32 v29, v33, 0xbf75a155, v22
	v_add_f32_e32 v17, v17, v23
	v_add_f32_e32 v23, v34, v24
	v_mul_f32_e32 v24, 0x3f68dda4, v32
	v_mul_f32_e32 v4, 0xbf75a155, v6
	v_add_f32_e32 v25, v29, v25
	v_fma_f32 v22, 0xbf75a155, v33, -v22
	v_mul_f32_e32 v6, 0x3ed4b147, v6
	v_fmamk_f32 v29, v33, 0x3ed4b147, v24
	v_fmamk_f32 v32, v8, 0x3e903f40, v4
	v_fmac_f32_e32 v4, 0xbe903f40, v8
	v_add_f32_e32 v21, v22, v21
	v_fma_f32 v24, 0x3ed4b147, v33, -v24
	v_add_f32_e32 v28, v29, v28
	v_sub_f32_e32 v29, v9, v11
	v_add_f32_e32 v27, v32, v27
	v_add_f32_e32 v22, v4, v30
	v_fmamk_f32 v4, v8, 0xbf68dda4, v6
	v_add_f32_e32 v30, v9, v11
	v_add_f32_e32 v32, v5, v7
	v_mul_f32_e32 v9, 0xbe903f40, v29
	v_sub_f32_e32 v33, v5, v7
	v_add_f32_e32 v31, v4, v31
	v_mul_f32_e32 v7, 0xbf75a155, v30
	v_fmac_f32_e32 v6, 0x3f68dda4, v8
	v_fmamk_f32 v4, v32, 0xbf75a155, v9
	v_mul_f32_e32 v11, 0x3f0a6770, v29
	v_add_f32_e32 v20, v35, v20
	v_fmamk_f32 v5, v33, 0x3e903f40, v7
	v_add_f32_e32 v1, v6, v1
	v_add_f32_e32 v4, v4, v12
	v_mul_f32_e32 v12, 0x3f575c64, v30
	v_fma_f32 v6, 0xbf75a155, v32, -v9
	v_fmac_f32_e32 v7, 0xbe903f40, v33
	v_add_f32_e32 v5, v5, v13
	v_fmamk_f32 v8, v32, 0x3f575c64, v11
	v_mul_f32_e32 v13, 0xbf4178ce, v29
	v_fmamk_f32 v9, v33, 0xbf0a6770, v12
	v_fmac_f32_e32 v12, 0x3f0a6770, v33
	v_add_f32_e32 v6, v6, v10
	v_add_f32_e32 v7, v7, v15
	;; [unrolled: 1-line block ×3, first 2 shown]
	v_fma_f32 v10, 0x3f575c64, v32, -v11
	v_fmamk_f32 v15, v32, 0xbf27a4f4, v13
	v_mul_f32_e32 v16, 0xbf27a4f4, v30
	v_add_f32_e32 v11, v12, v18
	v_mul_f32_e32 v18, 0x3f68dda4, v29
	v_add_f32_e32 v10, v10, v14
	v_add_f32_e32 v12, v15, v20
	v_fmamk_f32 v14, v33, 0x3f4178ce, v16
	v_fma_f32 v15, 0xbf27a4f4, v32, -v13
	v_fmac_f32_e32 v16, 0xbf4178ce, v33
	v_fmamk_f32 v20, v32, 0x3ed4b147, v18
	v_add_f32_e32 v9, v9, v19
	v_mul_f32_e32 v19, 0x3ed4b147, v30
	v_add_f32_e32 v13, v14, v26
	v_add_f32_e32 v14, v15, v17
	;; [unrolled: 1-line block ×4, first 2 shown]
	v_mul_f32_e32 v20, 0xbf7d64f0, v29
	v_mul_f32_e32 v23, 0xbe11bafb, v30
	v_fma_f32 v18, 0x3ed4b147, v32, -v18
	v_add_f32_e32 v0, v24, v0
	v_fmamk_f32 v17, v33, 0xbf68dda4, v19
	v_fmac_f32_e32 v19, 0x3f68dda4, v33
	v_fmamk_f32 v24, v33, 0x3f7d64f0, v23
	v_fma_f32 v25, 0xbe11bafb, v32, -v20
	v_fmac_f32_e32 v23, 0xbf7d64f0, v33
	v_add_f32_e32 v18, v18, v21
	v_fmamk_f32 v21, v32, 0xbe11bafb, v20
	v_add_f32_e32 v19, v19, v22
	v_add_f32_e32 v22, v25, v0
	;; [unrolled: 1-line block ×3, first 2 shown]
	v_add_nc_u32_e32 v1, 0x400, v93
	v_add_nc_u32_e32 v0, 0x800, v93
	v_add_f32_e32 v17, v17, v27
	v_add_f32_e32 v20, v21, v28
	;; [unrolled: 1-line block ×3, first 2 shown]
	ds_write_b64 v93, v[2:3]
	ds_write2_b64 v93, v[4:5], v[8:9] offset0:51 offset1:102
	ds_write2_b64 v93, v[12:13], v[16:17] offset0:153 offset1:204
	;; [unrolled: 1-line block ×5, first 2 shown]
	s_waitcnt lgkmcnt(0)
	s_barrier
	buffer_gl0_inv
	s_and_b32 exec_lo, exec_lo, vcc_lo
	s_cbranch_execz .LBB0_23
; %bb.22:
	global_load_dwordx2 v[2:3], v89, s[12:13]
	ds_read_b64 v[4:5], v93
	s_mov_b32 s0, 0x4bc01d34
	s_mov_b32 s1, 0x3f5d347a
	v_mad_u64_u32 v[8:9], null, s4, v90, 0
	s_mul_i32 s2, s5, 0x108
	s_mul_i32 s3, s4, 0x108
	s_waitcnt vmcnt(0) lgkmcnt(0)
	v_mul_f32_e32 v6, v5, v3
	v_mul_f32_e32 v3, v4, v3
	v_fmac_f32_e32 v6, v4, v2
	v_fma_f32 v4, v2, v5, -v3
	v_cvt_f64_f32_e32 v[2:3], v6
	v_cvt_f64_f32_e32 v[4:5], v4
	v_mad_u64_u32 v[6:7], null, s6, v68, 0
	v_mad_u64_u32 v[10:11], null, s7, v68, v[7:8]
	;; [unrolled: 1-line block ×3, first 2 shown]
	v_mov_b32_e32 v7, v10
	s_mul_hi_u32 s5, s4, 0x108
	v_mul_f64 v[2:3], v[2:3], s[0:1]
	v_mul_f64 v[4:5], v[4:5], s[0:1]
	s_add_i32 s2, s5, s2
	v_mov_b32_e32 v9, v11
	v_add_co_u32 v11, s4, s12, v89
	v_add_co_ci_u32_e64 v12, null, s13, 0, s4
	v_cvt_f32_f64_e32 v2, v[2:3]
	v_cvt_f32_f64_e32 v3, v[4:5]
	v_lshlrev_b64 v[4:5], 3, v[6:7]
	v_lshlrev_b64 v[6:7], 3, v[8:9]
	v_add_co_u32 v4, vcc_lo, s14, v4
	v_add_co_ci_u32_e32 v5, vcc_lo, s15, v5, vcc_lo
	v_add_co_u32 v6, vcc_lo, v4, v6
	v_add_co_ci_u32_e32 v7, vcc_lo, v5, v7, vcc_lo
	global_store_dwordx2 v[6:7], v[2:3], off
	global_load_dwordx2 v[8:9], v89, s[12:13] offset:264
	ds_read2_b64 v[2:5], v93 offset0:33 offset1:66
	v_add_co_u32 v6, vcc_lo, v6, s3
	v_add_co_ci_u32_e32 v7, vcc_lo, s2, v7, vcc_lo
	s_waitcnt vmcnt(0) lgkmcnt(0)
	v_mul_f32_e32 v10, v3, v9
	v_mul_f32_e32 v9, v2, v9
	v_fmac_f32_e32 v10, v2, v8
	v_fma_f32 v8, v8, v3, -v9
	v_cvt_f64_f32_e32 v[2:3], v10
	v_cvt_f64_f32_e32 v[8:9], v8
	v_mul_f64 v[2:3], v[2:3], s[0:1]
	v_mul_f64 v[8:9], v[8:9], s[0:1]
	v_cvt_f32_f64_e32 v2, v[2:3]
	v_cvt_f32_f64_e32 v3, v[8:9]
	global_store_dwordx2 v[6:7], v[2:3], off
	global_load_dwordx2 v[2:3], v89, s[12:13] offset:528
	v_add_co_u32 v6, vcc_lo, v6, s3
	v_add_co_ci_u32_e32 v7, vcc_lo, s2, v7, vcc_lo
	s_waitcnt vmcnt(0)
	v_mul_f32_e32 v8, v5, v3
	v_mul_f32_e32 v3, v4, v3
	v_fmac_f32_e32 v8, v4, v2
	v_fma_f32 v4, v2, v5, -v3
	v_cvt_f64_f32_e32 v[2:3], v8
	v_cvt_f64_f32_e32 v[4:5], v4
	v_mul_f64 v[2:3], v[2:3], s[0:1]
	v_mul_f64 v[4:5], v[4:5], s[0:1]
	v_cvt_f32_f64_e32 v2, v[2:3]
	v_cvt_f32_f64_e32 v3, v[4:5]
	global_store_dwordx2 v[6:7], v[2:3], off
	global_load_dwordx2 v[8:9], v89, s[12:13] offset:792
	ds_read2_b64 v[2:5], v93 offset0:99 offset1:132
	v_add_co_u32 v6, vcc_lo, v6, s3
	v_add_co_ci_u32_e32 v7, vcc_lo, s2, v7, vcc_lo
	s_waitcnt vmcnt(0) lgkmcnt(0)
	v_mul_f32_e32 v10, v3, v9
	v_mul_f32_e32 v9, v2, v9
	v_fmac_f32_e32 v10, v2, v8
	v_fma_f32 v8, v8, v3, -v9
	v_cvt_f64_f32_e32 v[2:3], v10
	v_cvt_f64_f32_e32 v[8:9], v8
	v_mul_f64 v[2:3], v[2:3], s[0:1]
	v_mul_f64 v[8:9], v[8:9], s[0:1]
	v_cvt_f32_f64_e32 v2, v[2:3]
	v_cvt_f32_f64_e32 v3, v[8:9]
	global_store_dwordx2 v[6:7], v[2:3], off
	global_load_dwordx2 v[2:3], v89, s[12:13] offset:1056
	v_add_co_u32 v6, vcc_lo, v6, s3
	v_add_co_ci_u32_e32 v7, vcc_lo, s2, v7, vcc_lo
	s_waitcnt vmcnt(0)
	v_mul_f32_e32 v8, v5, v3
	v_mul_f32_e32 v3, v4, v3
	v_fmac_f32_e32 v8, v4, v2
	v_fma_f32 v4, v2, v5, -v3
	v_cvt_f64_f32_e32 v[2:3], v8
	v_cvt_f64_f32_e32 v[4:5], v4
	v_mul_f64 v[2:3], v[2:3], s[0:1]
	v_mul_f64 v[4:5], v[4:5], s[0:1]
	v_cvt_f32_f64_e32 v2, v[2:3]
	v_cvt_f32_f64_e32 v3, v[4:5]
	global_store_dwordx2 v[6:7], v[2:3], off
	global_load_dwordx2 v[8:9], v89, s[12:13] offset:1320
	ds_read2_b64 v[2:5], v93 offset0:165 offset1:198
	v_add_co_u32 v6, vcc_lo, v6, s3
	v_add_co_ci_u32_e32 v7, vcc_lo, s2, v7, vcc_lo
	s_waitcnt vmcnt(0) lgkmcnt(0)
	v_mul_f32_e32 v10, v3, v9
	v_mul_f32_e32 v9, v2, v9
	v_fmac_f32_e32 v10, v2, v8
	v_fma_f32 v8, v8, v3, -v9
	v_cvt_f64_f32_e32 v[2:3], v10
	v_cvt_f64_f32_e32 v[8:9], v8
	v_mul_f64 v[2:3], v[2:3], s[0:1]
	v_mul_f64 v[8:9], v[8:9], s[0:1]
	v_cvt_f32_f64_e32 v2, v[2:3]
	v_cvt_f32_f64_e32 v3, v[8:9]
	global_store_dwordx2 v[6:7], v[2:3], off
	global_load_dwordx2 v[2:3], v89, s[12:13] offset:1584
	s_waitcnt vmcnt(0)
	v_mul_f32_e32 v8, v5, v3
	v_mul_f32_e32 v3, v4, v3
	v_fmac_f32_e32 v8, v4, v2
	v_fma_f32 v4, v2, v5, -v3
	v_cvt_f64_f32_e32 v[2:3], v8
	v_cvt_f64_f32_e32 v[4:5], v4
	v_mul_f64 v[2:3], v[2:3], s[0:1]
	v_mul_f64 v[4:5], v[4:5], s[0:1]
	v_cvt_f32_f64_e32 v2, v[2:3]
	v_cvt_f32_f64_e32 v3, v[4:5]
	v_add_co_u32 v5, vcc_lo, v6, s3
	v_add_co_ci_u32_e32 v6, vcc_lo, s2, v7, vcc_lo
	global_store_dwordx2 v[5:6], v[2:3], off
	global_load_dwordx2 v[7:8], v89, s[12:13] offset:1848
	ds_read2_b64 v[1:4], v1 offset0:103 offset1:136
	v_add_co_u32 v5, vcc_lo, v5, s3
	v_add_co_ci_u32_e32 v6, vcc_lo, s2, v6, vcc_lo
	s_waitcnt vmcnt(0) lgkmcnt(0)
	v_mul_f32_e32 v9, v2, v8
	v_mul_f32_e32 v8, v1, v8
	v_fmac_f32_e32 v9, v1, v7
	v_fma_f32 v7, v7, v2, -v8
	v_cvt_f64_f32_e32 v[1:2], v9
	v_cvt_f64_f32_e32 v[7:8], v7
	v_mul_f64 v[1:2], v[1:2], s[0:1]
	v_mul_f64 v[7:8], v[7:8], s[0:1]
	v_cvt_f32_f64_e32 v1, v[1:2]
	v_cvt_f32_f64_e32 v2, v[7:8]
	v_add_co_u32 v7, vcc_lo, 0x800, v11
	v_add_co_ci_u32_e32 v8, vcc_lo, 0, v12, vcc_lo
	global_store_dwordx2 v[5:6], v[1:2], off
	global_load_dwordx2 v[1:2], v[7:8], off offset:64
	v_add_co_u32 v5, vcc_lo, v5, s3
	v_add_co_ci_u32_e32 v6, vcc_lo, s2, v6, vcc_lo
	s_waitcnt vmcnt(0)
	v_mul_f32_e32 v9, v4, v2
	v_mul_f32_e32 v2, v3, v2
	v_fmac_f32_e32 v9, v3, v1
	v_fma_f32 v3, v1, v4, -v2
	v_cvt_f64_f32_e32 v[1:2], v9
	v_cvt_f64_f32_e32 v[3:4], v3
	v_mul_f64 v[1:2], v[1:2], s[0:1]
	v_mul_f64 v[3:4], v[3:4], s[0:1]
	v_cvt_f32_f64_e32 v1, v[1:2]
	v_cvt_f32_f64_e32 v2, v[3:4]
	global_store_dwordx2 v[5:6], v[1:2], off
	global_load_dwordx2 v[9:10], v[7:8], off offset:328
	ds_read2_b64 v[1:4], v0 offset0:41 offset1:74
	v_add_co_u32 v5, vcc_lo, v5, s3
	v_add_co_ci_u32_e32 v6, vcc_lo, s2, v6, vcc_lo
	s_waitcnt vmcnt(0) lgkmcnt(0)
	v_mul_f32_e32 v13, v2, v10
	v_mul_f32_e32 v10, v1, v10
	v_fmac_f32_e32 v13, v1, v9
	v_fma_f32 v9, v9, v2, -v10
	v_cvt_f64_f32_e32 v[1:2], v13
	v_cvt_f64_f32_e32 v[9:10], v9
	v_mul_f64 v[1:2], v[1:2], s[0:1]
	v_mul_f64 v[9:10], v[9:10], s[0:1]
	v_cvt_f32_f64_e32 v1, v[1:2]
	v_cvt_f32_f64_e32 v2, v[9:10]
	global_store_dwordx2 v[5:6], v[1:2], off
	global_load_dwordx2 v[1:2], v[7:8], off offset:592
	v_add_co_u32 v5, vcc_lo, v5, s3
	v_add_co_ci_u32_e32 v6, vcc_lo, s2, v6, vcc_lo
	s_waitcnt vmcnt(0)
	v_mul_f32_e32 v9, v4, v2
	v_mul_f32_e32 v2, v3, v2
	v_fmac_f32_e32 v9, v3, v1
	v_fma_f32 v3, v1, v4, -v2
	v_cvt_f64_f32_e32 v[1:2], v9
	v_cvt_f64_f32_e32 v[3:4], v3
	v_mul_f64 v[1:2], v[1:2], s[0:1]
	v_mul_f64 v[3:4], v[3:4], s[0:1]
	v_cvt_f32_f64_e32 v1, v[1:2]
	v_cvt_f32_f64_e32 v2, v[3:4]
	global_store_dwordx2 v[5:6], v[1:2], off
	global_load_dwordx2 v[9:10], v[7:8], off offset:856
	ds_read2_b64 v[1:4], v0 offset0:107 offset1:140
	v_add_co_u32 v5, vcc_lo, v5, s3
	v_add_co_ci_u32_e32 v6, vcc_lo, s2, v6, vcc_lo
	s_waitcnt vmcnt(0) lgkmcnt(0)
	v_mul_f32_e32 v13, v2, v10
	v_mul_f32_e32 v10, v1, v10
	v_fmac_f32_e32 v13, v1, v9
	v_fma_f32 v9, v9, v2, -v10
	v_cvt_f64_f32_e32 v[1:2], v13
	v_cvt_f64_f32_e32 v[9:10], v9
	v_mul_f64 v[1:2], v[1:2], s[0:1]
	v_mul_f64 v[9:10], v[9:10], s[0:1]
	v_cvt_f32_f64_e32 v1, v[1:2]
	v_cvt_f32_f64_e32 v2, v[9:10]
	global_store_dwordx2 v[5:6], v[1:2], off
	global_load_dwordx2 v[1:2], v[7:8], off offset:1120
	s_waitcnt vmcnt(0)
	v_mul_f32_e32 v9, v4, v2
	v_mul_f32_e32 v2, v3, v2
	v_fmac_f32_e32 v9, v3, v1
	v_fma_f32 v3, v1, v4, -v2
	v_cvt_f64_f32_e32 v[1:2], v9
	v_cvt_f64_f32_e32 v[3:4], v3
	v_mul_f64 v[1:2], v[1:2], s[0:1]
	v_mul_f64 v[3:4], v[3:4], s[0:1]
	v_cvt_f32_f64_e32 v1, v[1:2]
	v_cvt_f32_f64_e32 v2, v[3:4]
	v_add_co_u32 v4, vcc_lo, v5, s3
	v_add_co_ci_u32_e32 v5, vcc_lo, s2, v6, vcc_lo
	global_store_dwordx2 v[4:5], v[1:2], off
	global_load_dwordx2 v[9:10], v[7:8], off offset:1384
	ds_read2_b64 v[0:3], v0 offset0:173 offset1:206
	v_add_co_u32 v4, vcc_lo, v4, s3
	v_add_co_ci_u32_e32 v5, vcc_lo, s2, v5, vcc_lo
	s_waitcnt vmcnt(0) lgkmcnt(0)
	v_mul_f32_e32 v6, v1, v10
	v_mul_f32_e32 v10, v0, v10
	v_fmac_f32_e32 v6, v0, v9
	v_fma_f32 v9, v9, v1, -v10
	v_cvt_f64_f32_e32 v[0:1], v6
	v_cvt_f64_f32_e32 v[9:10], v9
	v_mul_f64 v[0:1], v[0:1], s[0:1]
	v_mul_f64 v[9:10], v[9:10], s[0:1]
	v_cvt_f32_f64_e32 v0, v[0:1]
	v_cvt_f32_f64_e32 v1, v[9:10]
	global_store_dwordx2 v[4:5], v[0:1], off
	global_load_dwordx2 v[0:1], v[7:8], off offset:1648
	v_add_co_u32 v4, vcc_lo, v4, s3
	v_add_co_ci_u32_e32 v5, vcc_lo, s2, v5, vcc_lo
	s_waitcnt vmcnt(0)
	v_mul_f32_e32 v6, v3, v1
	v_mul_f32_e32 v1, v2, v1
	v_fmac_f32_e32 v6, v2, v0
	v_fma_f32 v2, v0, v3, -v1
	v_cvt_f64_f32_e32 v[0:1], v6
	v_cvt_f64_f32_e32 v[2:3], v2
	v_mul_f64 v[0:1], v[0:1], s[0:1]
	v_mul_f64 v[2:3], v[2:3], s[0:1]
	v_cvt_f32_f64_e32 v0, v[0:1]
	v_cvt_f32_f64_e32 v1, v[2:3]
	global_store_dwordx2 v[4:5], v[0:1], off
	global_load_dwordx2 v[6:7], v[7:8], off offset:1912
	v_add_nc_u32_e32 v0, 0xc00, v93
	v_add_co_u32 v4, vcc_lo, v4, s3
	v_add_co_ci_u32_e32 v5, vcc_lo, s2, v5, vcc_lo
	ds_read2_b64 v[0:3], v0 offset0:111 offset1:144
	s_waitcnt vmcnt(0) lgkmcnt(0)
	v_mul_f32_e32 v8, v1, v7
	v_mul_f32_e32 v7, v0, v7
	v_fmac_f32_e32 v8, v0, v6
	v_fma_f32 v6, v6, v1, -v7
	v_cvt_f64_f32_e32 v[0:1], v8
	v_cvt_f64_f32_e32 v[6:7], v6
	v_mul_f64 v[0:1], v[0:1], s[0:1]
	v_mul_f64 v[6:7], v[6:7], s[0:1]
	v_cvt_f32_f64_e32 v0, v[0:1]
	v_cvt_f32_f64_e32 v1, v[6:7]
	v_add_co_u32 v6, vcc_lo, 0x1000, v11
	v_add_co_ci_u32_e32 v7, vcc_lo, 0, v12, vcc_lo
	global_store_dwordx2 v[4:5], v[0:1], off
	global_load_dwordx2 v[0:1], v[6:7], off offset:128
	s_waitcnt vmcnt(0)
	v_mul_f32_e32 v6, v3, v1
	v_mul_f32_e32 v1, v2, v1
	v_fmac_f32_e32 v6, v2, v0
	v_fma_f32 v2, v0, v3, -v1
	v_cvt_f64_f32_e32 v[0:1], v6
	v_cvt_f64_f32_e32 v[2:3], v2
	v_mul_f64 v[0:1], v[0:1], s[0:1]
	v_mul_f64 v[2:3], v[2:3], s[0:1]
	v_cvt_f32_f64_e32 v0, v[0:1]
	v_cvt_f32_f64_e32 v1, v[2:3]
	v_add_co_u32 v2, vcc_lo, v4, s3
	v_add_co_ci_u32_e32 v3, vcc_lo, s2, v5, vcc_lo
	global_store_dwordx2 v[2:3], v[0:1], off
.LBB0_23:
	s_endpgm
	.section	.rodata,"a",@progbits
	.p2align	6, 0x0
	.amdhsa_kernel bluestein_single_back_len561_dim1_sp_op_CI_CI
		.amdhsa_group_segment_fixed_size 22440
		.amdhsa_private_segment_fixed_size 8
		.amdhsa_kernarg_size 104
		.amdhsa_user_sgpr_count 6
		.amdhsa_user_sgpr_private_segment_buffer 1
		.amdhsa_user_sgpr_dispatch_ptr 0
		.amdhsa_user_sgpr_queue_ptr 0
		.amdhsa_user_sgpr_kernarg_segment_ptr 1
		.amdhsa_user_sgpr_dispatch_id 0
		.amdhsa_user_sgpr_flat_scratch_init 0
		.amdhsa_user_sgpr_private_segment_size 0
		.amdhsa_wavefront_size32 1
		.amdhsa_uses_dynamic_stack 0
		.amdhsa_system_sgpr_private_segment_wavefront_offset 1
		.amdhsa_system_sgpr_workgroup_id_x 1
		.amdhsa_system_sgpr_workgroup_id_y 0
		.amdhsa_system_sgpr_workgroup_id_z 0
		.amdhsa_system_sgpr_workgroup_info 0
		.amdhsa_system_vgpr_workitem_id 0
		.amdhsa_next_free_vgpr 256
		.amdhsa_next_free_sgpr 20
		.amdhsa_reserve_vcc 1
		.amdhsa_reserve_flat_scratch 0
		.amdhsa_float_round_mode_32 0
		.amdhsa_float_round_mode_16_64 0
		.amdhsa_float_denorm_mode_32 3
		.amdhsa_float_denorm_mode_16_64 3
		.amdhsa_dx10_clamp 1
		.amdhsa_ieee_mode 1
		.amdhsa_fp16_overflow 0
		.amdhsa_workgroup_processor_mode 1
		.amdhsa_memory_ordered 1
		.amdhsa_forward_progress 0
		.amdhsa_shared_vgpr_count 0
		.amdhsa_exception_fp_ieee_invalid_op 0
		.amdhsa_exception_fp_denorm_src 0
		.amdhsa_exception_fp_ieee_div_zero 0
		.amdhsa_exception_fp_ieee_overflow 0
		.amdhsa_exception_fp_ieee_underflow 0
		.amdhsa_exception_fp_ieee_inexact 0
		.amdhsa_exception_int_div_zero 0
	.end_amdhsa_kernel
	.text
.Lfunc_end0:
	.size	bluestein_single_back_len561_dim1_sp_op_CI_CI, .Lfunc_end0-bluestein_single_back_len561_dim1_sp_op_CI_CI
                                        ; -- End function
	.section	.AMDGPU.csdata,"",@progbits
; Kernel info:
; codeLenInByte = 20888
; NumSgprs: 22
; NumVgprs: 256
; ScratchSize: 8
; MemoryBound: 0
; FloatMode: 240
; IeeeMode: 1
; LDSByteSize: 22440 bytes/workgroup (compile time only)
; SGPRBlocks: 2
; VGPRBlocks: 31
; NumSGPRsForWavesPerEU: 22
; NumVGPRsForWavesPerEU: 256
; Occupancy: 4
; WaveLimiterHint : 1
; COMPUTE_PGM_RSRC2:SCRATCH_EN: 1
; COMPUTE_PGM_RSRC2:USER_SGPR: 6
; COMPUTE_PGM_RSRC2:TRAP_HANDLER: 0
; COMPUTE_PGM_RSRC2:TGID_X_EN: 1
; COMPUTE_PGM_RSRC2:TGID_Y_EN: 0
; COMPUTE_PGM_RSRC2:TGID_Z_EN: 0
; COMPUTE_PGM_RSRC2:TIDIG_COMP_CNT: 0
	.text
	.p2alignl 6, 3214868480
	.fill 48, 4, 3214868480
	.type	__hip_cuid_ff6ca0541386a3dc,@object ; @__hip_cuid_ff6ca0541386a3dc
	.section	.bss,"aw",@nobits
	.globl	__hip_cuid_ff6ca0541386a3dc
__hip_cuid_ff6ca0541386a3dc:
	.byte	0                               ; 0x0
	.size	__hip_cuid_ff6ca0541386a3dc, 1

	.ident	"AMD clang version 19.0.0git (https://github.com/RadeonOpenCompute/llvm-project roc-6.4.0 25133 c7fe45cf4b819c5991fe208aaa96edf142730f1d)"
	.section	".note.GNU-stack","",@progbits
	.addrsig
	.addrsig_sym __hip_cuid_ff6ca0541386a3dc
	.amdgpu_metadata
---
amdhsa.kernels:
  - .args:
      - .actual_access:  read_only
        .address_space:  global
        .offset:         0
        .size:           8
        .value_kind:     global_buffer
      - .actual_access:  read_only
        .address_space:  global
        .offset:         8
        .size:           8
        .value_kind:     global_buffer
      - .actual_access:  read_only
        .address_space:  global
        .offset:         16
        .size:           8
        .value_kind:     global_buffer
      - .actual_access:  read_only
        .address_space:  global
        .offset:         24
        .size:           8
        .value_kind:     global_buffer
      - .actual_access:  read_only
        .address_space:  global
        .offset:         32
        .size:           8
        .value_kind:     global_buffer
      - .offset:         40
        .size:           8
        .value_kind:     by_value
      - .address_space:  global
        .offset:         48
        .size:           8
        .value_kind:     global_buffer
      - .address_space:  global
        .offset:         56
        .size:           8
        .value_kind:     global_buffer
      - .address_space:  global
        .offset:         64
        .size:           8
        .value_kind:     global_buffer
      - .address_space:  global
        .offset:         72
        .size:           8
        .value_kind:     global_buffer
      - .offset:         80
        .size:           4
        .value_kind:     by_value
      - .address_space:  global
        .offset:         88
        .size:           8
        .value_kind:     global_buffer
      - .address_space:  global
        .offset:         96
        .size:           8
        .value_kind:     global_buffer
    .group_segment_fixed_size: 22440
    .kernarg_segment_align: 8
    .kernarg_segment_size: 104
    .language:       OpenCL C
    .language_version:
      - 2
      - 0
    .max_flat_workgroup_size: 255
    .name:           bluestein_single_back_len561_dim1_sp_op_CI_CI
    .private_segment_fixed_size: 8
    .sgpr_count:     22
    .sgpr_spill_count: 0
    .symbol:         bluestein_single_back_len561_dim1_sp_op_CI_CI.kd
    .uniform_work_group_size: 1
    .uses_dynamic_stack: false
    .vgpr_count:     256
    .vgpr_spill_count: 1
    .wavefront_size: 32
    .workgroup_processor_mode: 1
amdhsa.target:   amdgcn-amd-amdhsa--gfx1030
amdhsa.version:
  - 1
  - 2
...

	.end_amdgpu_metadata
